;; amdgpu-corpus repo=ROCm/rocFFT kind=compiled arch=gfx950 opt=O3
	.text
	.amdgcn_target "amdgcn-amd-amdhsa--gfx950"
	.amdhsa_code_object_version 6
	.protected	bluestein_single_fwd_len1360_dim1_dp_op_CI_CI ; -- Begin function bluestein_single_fwd_len1360_dim1_dp_op_CI_CI
	.globl	bluestein_single_fwd_len1360_dim1_dp_op_CI_CI
	.p2align	8
	.type	bluestein_single_fwd_len1360_dim1_dp_op_CI_CI,@function
bluestein_single_fwd_len1360_dim1_dp_op_CI_CI: ; @bluestein_single_fwd_len1360_dim1_dp_op_CI_CI
; %bb.0:
	s_load_dwordx4 s[8:11], s[0:1], 0x28
	v_mul_u32_u24_e32 v1, 0x304, v0
	v_lshrrev_b32_e32 v2, 16, v1
	v_mad_u64_u32 v[250:251], s[2:3], s2, 3, v[2:3]
	v_mov_b32_e32 v251, 0
	s_waitcnt lgkmcnt(0)
	v_cmp_gt_u64_e32 vcc, s[8:9], v[250:251]
	s_and_saveexec_b64 s[2:3], vcc
	s_cbranch_execz .LBB0_23
; %bb.1:
	v_mul_lo_u16_e32 v1, 0x55, v2
	s_mov_b32 s2, 0xaaaaaaab
	v_sub_u16_e32 v246, v0, v1
	v_mul_hi_u32 v0, v250, s2
	s_load_dwordx2 s[8:9], s[0:1], 0x0
	s_load_dwordx2 s[12:13], s[0:1], 0x38
	v_lshrrev_b32_e32 v0, 1, v0
	v_lshl_add_u32 v0, v0, 1, v0
	v_sub_u32_e32 v0, v250, v0
	v_mul_u32_u24_e32 v244, 0x550, v0
	s_movk_i32 s2, 0x50
	v_cmp_gt_u16_e32 vcc, s2, v246
	v_lshlrev_b32_e32 v248, 4, v246
	v_lshlrev_b32_e32 v245, 4, v244
	s_and_saveexec_b64 s[14:15], vcc
	s_cbranch_execz .LBB0_3
; %bb.2:
	s_load_dwordx2 s[2:3], s[0:1], 0x18
	v_mov_b32_e32 v249, 0
	s_waitcnt lgkmcnt(0)
	v_lshl_add_u64 v[96:97], s[8:9], 0, v[248:249]
	v_mov_b32_e32 v0, s10
	v_mov_b32_e32 v1, s11
	s_load_dwordx4 s[4:7], s[2:3], 0x0
	v_or_b32_e32 v58, 0x280, v246
	v_or_b32_e32 v142, 0x500, v246
	v_lshlrev_b32_e32 v59, 4, v58
	v_lshlrev_b32_e32 v60, 4, v142
	s_waitcnt lgkmcnt(0)
	v_mad_u64_u32 v[2:3], s[2:3], s6, v250, 0
	v_mad_u64_u32 v[4:5], s[2:3], s4, v246, 0
	v_mov_b32_e32 v6, v3
	v_mov_b32_e32 v8, v5
	v_mad_u64_u32 v[6:7], s[2:3], s7, v250, v[6:7]
	v_mov_b32_e32 v3, v6
	v_mad_u64_u32 v[6:7], s[2:3], s5, v246, v[8:9]
	s_movk_i32 s2, 0x1000
	s_nop 0
	v_add_co_u32_e64 v54, s[2:3], s2, v96
	s_movk_i32 s6, 0x2000
	s_nop 0
	v_addc_co_u32_e64 v55, s[2:3], 0, v97, s[2:3]
	v_mov_b32_e32 v5, v6
	v_lshl_add_u64 v[20:21], v[2:3], 4, v[0:1]
	v_add_co_u32_e64 v56, s[2:3], s6, v96
	v_lshl_add_u64 v[22:23], v[4:5], 4, v[20:21]
	global_load_dwordx4 v[0:3], v248, s[8:9]
	global_load_dwordx4 v[4:7], v[22:23], off
	global_load_dwordx4 v[8:11], v248, s[8:9] offset:1280
	global_load_dwordx4 v[12:15], v248, s[8:9] offset:2560
	global_load_dwordx4 v[16:19], v248, s[8:9] offset:3840
	v_addc_co_u32_e64 v57, s[2:3], 0, v97, s[2:3]
	global_load_dwordx4 v[26:29], v59, s[8:9]
	global_load_dwordx4 v[30:33], v60, s[8:9]
	global_load_dwordx4 v[34:37], v[54:55], off offset:1024
	global_load_dwordx4 v[38:41], v[54:55], off offset:2304
	;; [unrolled: 1-line block ×5, first 2 shown]
	v_mad_u64_u32 v[54:55], s[2:3], s4, v58, 0
	v_mov_b32_e32 v56, v55
	v_mov_b32_e32 v25, 0x500
	v_mad_u64_u32 v[56:57], s[2:3], s5, v58, v[56:57]
	s_mul_i32 s6, s5, 0x500
	v_mov_b32_e32 v55, v56
	v_mad_u64_u32 v[22:23], s[2:3], s4, v25, v[22:23]
	v_lshl_add_u64 v[54:55], v[54:55], 4, v[20:21]
	v_add_u32_e32 v23, s6, v23
	global_load_dwordx4 v[54:57], v[54:55], off
	v_mov_b32_e32 v86, 0xa00
	global_load_dwordx4 v[58:61], v[22:23], off
	v_mad_u64_u32 v[22:23], s[2:3], s4, v25, v[22:23]
	v_add_u32_e32 v23, s6, v23
	global_load_dwordx4 v[62:65], v[22:23], off
	v_mad_u64_u32 v[22:23], s[2:3], s4, v25, v[22:23]
	v_add_u32_e32 v23, s6, v23
	v_mad_u64_u32 v[74:75], s[2:3], s4, v25, v[22:23]
	v_add_u32_e32 v75, s6, v75
	global_load_dwordx4 v[66:69], v[22:23], off
	global_load_dwordx4 v[70:73], v[74:75], off
	v_mad_u64_u32 v[22:23], s[2:3], s4, v25, v[74:75]
	v_add_u32_e32 v23, s6, v23
	global_load_dwordx4 v[74:77], v[22:23], off
	v_mad_u64_u32 v[22:23], s[2:3], s4, v25, v[22:23]
	v_add_u32_e32 v23, s6, v23
	;; [unrolled: 3-line block ×3, first 2 shown]
	s_mul_i32 s10, s5, 0xa00
	global_load_dwordx4 v[82:85], v[22:23], off
	v_mad_u64_u32 v[22:23], s[2:3], s4, v86, v[22:23]
	v_add_u32_e32 v23, s10, v23
	s_movk_i32 s7, 0x3000
	global_load_dwordx4 v[86:89], v[22:23], off
	v_mad_u64_u32 v[22:23], s[2:3], s4, v25, v[22:23]
	v_add_u32_e32 v23, s6, v23
	v_add_co_u32_e64 v118, s[2:3], s7, v96
	global_load_dwordx4 v[90:93], v[22:23], off
	s_nop 0
	v_addc_co_u32_e64 v119, s[2:3], 0, v97, s[2:3]
	v_mad_u64_u32 v[22:23], s[2:3], s4, v25, v[22:23]
	v_add_u32_e32 v23, s6, v23
	global_load_dwordx4 v[102:105], v[22:23], off
	v_mad_u64_u32 v[22:23], s[2:3], s4, v25, v[22:23]
	v_add_u32_e32 v23, s6, v23
	global_load_dwordx4 v[98:101], v[118:119], off offset:512
	global_load_dwordx4 v[106:109], v[22:23], off
	global_load_dwordx4 v[110:113], v[118:119], off offset:1792
	global_load_dwordx4 v[114:117], v[118:119], off offset:3072
	v_mad_u64_u32 v[22:23], s[2:3], s4, v25, v[22:23]
	s_movk_i32 s2, 0x4000
	v_add_u32_e32 v23, s6, v23
	v_add_co_u32_e64 v96, s[2:3], s2, v96
	global_load_dwordx4 v[118:121], v[22:23], off
	s_nop 0
	v_addc_co_u32_e64 v97, s[2:3], 0, v97, s[2:3]
	v_mad_u64_u32 v[22:23], s[2:3], s4, v25, v[22:23]
	v_add_u32_e32 v23, s6, v23
	global_load_dwordx4 v[122:125], v[96:97], off offset:256
	global_load_dwordx4 v[126:129], v[22:23], off
	global_load_dwordx4 v[130:133], v[96:97], off offset:1536
	v_mad_u64_u32 v[22:23], s[2:3], s4, v25, v[22:23]
	v_add_u32_e32 v23, s6, v23
	global_load_dwordx4 v[134:137], v[22:23], off
	global_load_dwordx4 v[138:141], v[96:97], off offset:2816
	v_mad_u64_u32 v[22:23], s[2:3], s4, v142, 0
	v_mov_b32_e32 v96, v23
	v_mad_u64_u32 v[96:97], s[2:3], s5, v142, v[96:97]
	v_mov_b32_e32 v23, v96
	v_lshl_add_u64 v[20:21], v[22:23], 4, v[20:21]
	global_load_dwordx4 v[20:23], v[20:21], off
	s_waitcnt vmcnt(32)
	v_mul_f64 v[94:95], v[6:7], v[2:3]
	v_mul_f64 v[2:3], v[4:5], v[2:3]
	v_fmac_f64_e32 v[94:95], v[4:5], v[0:1]
	v_fma_f64 v[96:97], v[6:7], v[0:1], -v[2:3]
	v_lshl_add_u32 v24, v246, 4, v245
	v_add_u32_e32 v4, v245, v248
	ds_write_b128 v24, v[94:97]
	s_waitcnt vmcnt(20)
	v_mul_f64 v[0:1], v[60:61], v[10:11]
	v_mul_f64 v[2:3], v[58:59], v[10:11]
	v_fmac_f64_e32 v[0:1], v[58:59], v[8:9]
	v_fma_f64 v[2:3], v[60:61], v[8:9], -v[2:3]
	ds_write_b128 v4, v[0:3] offset:1280
	s_waitcnt vmcnt(19)
	v_mul_f64 v[0:1], v[64:65], v[14:15]
	v_mul_f64 v[2:3], v[62:63], v[14:15]
	v_fmac_f64_e32 v[0:1], v[62:63], v[12:13]
	v_fma_f64 v[2:3], v[64:65], v[12:13], -v[2:3]
	ds_write_b128 v4, v[0:3] offset:2560
	;; [unrolled: 6-line block ×7, first 2 shown]
	v_mul_f64 v[0:1], v[56:57], v[28:29]
	v_mul_f64 v[2:3], v[54:55], v[28:29]
	v_fmac_f64_e32 v[0:1], v[54:55], v[26:27]
	v_fma_f64 v[2:3], v[56:57], v[26:27], -v[2:3]
	ds_write_b128 v4, v[0:3] offset:10240
	s_waitcnt vmcnt(13)
	v_mul_f64 v[0:1], v[88:89], v[52:53]
	v_mul_f64 v[2:3], v[86:87], v[52:53]
	v_fmac_f64_e32 v[0:1], v[86:87], v[50:51]
	v_fma_f64 v[2:3], v[88:89], v[50:51], -v[2:3]
	ds_write_b128 v4, v[0:3] offset:11520
	s_waitcnt vmcnt(10)
	;; [unrolled: 6-line block ×8, first 2 shown]
	v_mul_f64 v[0:1], v[22:23], v[32:33]
	v_mul_f64 v[2:3], v[20:21], v[32:33]
	v_fmac_f64_e32 v[0:1], v[20:21], v[30:31]
	v_fma_f64 v[2:3], v[22:23], v[30:31], -v[2:3]
	ds_write_b128 v4, v[0:3] offset:20480
.LBB0_3:
	s_or_b64 exec, exec, s[14:15]
	s_waitcnt lgkmcnt(0)
	s_barrier
	s_waitcnt lgkmcnt(0)
                                        ; implicit-def: $vgpr0_vgpr1
                                        ; implicit-def: $vgpr16_vgpr17
                                        ; implicit-def: $vgpr32_vgpr33
                                        ; implicit-def: $vgpr60_vgpr61
                                        ; implicit-def: $vgpr68_vgpr69
                                        ; implicit-def: $vgpr56_vgpr57
                                        ; implicit-def: $vgpr52_vgpr53
                                        ; implicit-def: $vgpr48_vgpr49
                                        ; implicit-def: $vgpr44_vgpr45
                                        ; implicit-def: $vgpr40_vgpr41
                                        ; implicit-def: $vgpr36_vgpr37
                                        ; implicit-def: $vgpr28_vgpr29
                                        ; implicit-def: $vgpr24_vgpr25
                                        ; implicit-def: $vgpr20_vgpr21
                                        ; implicit-def: $vgpr12_vgpr13
                                        ; implicit-def: $vgpr8_vgpr9
                                        ; implicit-def: $vgpr4_vgpr5
	s_and_saveexec_b64 s[2:3], vcc
	s_cbranch_execz .LBB0_5
; %bb.4:
	v_lshl_add_u32 v64, v244, 4, v248
	ds_read_b128 v[0:3], v64
	ds_read_b128 v[4:7], v64 offset:1280
	ds_read_b128 v[8:11], v64 offset:2560
	;; [unrolled: 1-line block ×16, first 2 shown]
.LBB0_5:
	s_or_b64 exec, exec, s[2:3]
	s_mov_b32 s22, 0x5d8e7cdc
	s_load_dwordx2 s[4:5], s[0:1], 0x20
	s_load_dwordx2 s[2:3], s[0:1], 0x8
	s_waitcnt lgkmcnt(0)
	v_add_f64 v[116:117], v[6:7], -v[70:71]
	s_mov_b32 s0, 0x370991
	s_mov_b32 s23, 0xbfd71e95
	;; [unrolled: 1-line block ×3, first 2 shown]
	v_add_f64 v[150:151], v[68:69], v[4:5]
	v_add_f64 v[168:169], v[4:5], -v[68:69]
	s_mov_b32 s1, 0x3fedd6d0
	v_mul_f64 v[80:81], v[116:117], s[22:23]
	s_mov_b32 s10, 0x75d4884
	s_mov_b32 s37, 0xbfe58eea
	v_add_f64 v[118:119], v[10:11], -v[62:63]
	v_add_f64 v[160:161], v[70:71], v[6:7]
	v_mul_f64 v[82:83], v[168:169], s[22:23]
	v_fma_f64 v[64:65], s[0:1], v[150:151], v[80:81]
	s_mov_b32 s11, 0x3fe7a5f6
	v_add_f64 v[170:171], v[60:61], v[8:9]
	v_add_f64 v[192:193], v[8:9], -v[60:61]
	v_mul_f64 v[84:85], v[118:119], s[36:37]
	s_mov_b32 s28, 0xeb564b22
	v_add_f64 v[64:65], v[0:1], v[64:65]
	v_fma_f64 v[66:67], v[160:161], s[0:1], -v[82:83]
	v_mul_f64 v[88:89], v[116:117], s[36:37]
	v_add_f64 v[172:173], v[62:63], v[10:11]
	v_mul_f64 v[86:87], v[192:193], s[36:37]
	v_fma_f64 v[76:77], s[10:11], v[170:171], v[84:85]
	s_mov_b32 s16, 0x3259b75e
	s_mov_b32 s29, 0xbfefdd0d
	v_add_f64 v[66:67], v[2:3], v[66:67]
	v_mul_f64 v[132:133], v[168:169], s[36:37]
	v_fma_f64 v[72:73], s[10:11], v[150:151], v[88:89]
	v_add_f64 v[64:65], v[76:77], v[64:65]
	v_fma_f64 v[76:77], v[172:173], s[10:11], -v[86:87]
	s_mov_b32 s17, 0x3fb79ee6
	v_mul_f64 v[134:135], v[118:119], s[28:29]
	s_mov_b32 s30, 0x7c9e640b
	v_add_f64 v[72:73], v[0:1], v[72:73]
	v_fma_f64 v[74:75], v[160:161], s[10:11], -v[132:133]
	v_add_f64 v[66:67], v[76:77], v[66:67]
	v_mul_f64 v[140:141], v[192:193], s[28:29]
	v_fma_f64 v[76:77], s[16:17], v[170:171], v[134:135]
	v_add_f64 v[212:213], v[14:15], -v[58:59]
	s_mov_b32 s14, 0x2b2883cd
	s_mov_b32 s31, 0xbfeca52d
	v_add_f64 v[74:75], v[2:3], v[74:75]
	v_add_f64 v[72:73], v[76:77], v[72:73]
	v_fma_f64 v[76:77], v[172:173], s[16:17], -v[140:141]
	v_add_f64 v[174:175], v[56:57], v[12:13]
	v_add_f64 v[216:217], v[12:13], -v[56:57]
	s_mov_b32 s15, 0x3fdc86fa
	v_mul_f64 v[90:91], v[212:213], s[30:31]
	s_mov_b32 s34, 0x6c9a05f6
	v_add_f64 v[74:75], v[76:77], v[74:75]
	v_add_f64 v[176:177], v[58:59], v[14:15]
	v_mul_f64 v[136:137], v[216:217], s[30:31]
	v_fma_f64 v[76:77], s[14:15], v[174:175], v[90:91]
	s_mov_b32 s18, 0x6ed5f1bb
	s_mov_b32 s35, 0xbfe9895b
	v_add_f64 v[64:65], v[76:77], v[64:65]
	v_fma_f64 v[76:77], v[176:177], s[14:15], -v[136:137]
	s_mov_b32 s19, 0xbfe348c8
	v_mul_f64 v[144:145], v[212:213], s[34:35]
	v_add_f64 v[66:67], v[76:77], v[66:67]
	v_mul_f64 v[148:149], v[216:217], s[34:35]
	v_fma_f64 v[76:77], s[18:19], v[174:175], v[144:145]
	v_add_f64 v[228:229], v[22:23], -v[54:55]
	v_add_f64 v[72:73], v[76:77], v[72:73]
	v_fma_f64 v[76:77], v[176:177], s[18:19], -v[148:149]
	v_add_f64 v[186:187], v[52:53], v[20:21]
	v_add_f64 v[224:225], v[20:21], -v[52:53]
	v_mul_f64 v[138:139], v[228:229], s[28:29]
	s_mov_b32 s42, 0xacd6c6b4
	v_add_f64 v[74:75], v[76:77], v[74:75]
	v_add_f64 v[188:189], v[54:55], v[22:23]
	v_mul_f64 v[142:143], v[224:225], s[28:29]
	v_fma_f64 v[76:77], s[16:17], v[186:187], v[138:139]
	s_mov_b32 s20, 0x7faef3
	s_mov_b32 s43, 0xbfc7851a
	v_add_f64 v[64:65], v[76:77], v[64:65]
	v_fma_f64 v[76:77], v[188:189], s[16:17], -v[142:143]
	s_mov_b32 s21, 0xbfef7484
	v_mul_f64 v[152:153], v[228:229], s[42:43]
	s_mov_b32 s46, 0x923c349f
	v_add_f64 v[66:67], v[76:77], v[66:67]
	v_mul_f64 v[158:159], v[224:225], s[42:43]
	v_fma_f64 v[76:77], s[20:21], v[186:187], v[152:153]
	v_add_f64 v[230:231], v[26:27], -v[50:51]
	s_mov_b32 s26, 0xc61f0d01
	s_mov_b32 s47, 0xbfeec746
	v_add_f64 v[72:73], v[76:77], v[72:73]
	v_fma_f64 v[76:77], v[188:189], s[20:21], -v[158:159]
	v_add_f64 v[196:197], v[48:49], v[24:25]
	v_add_f64 v[226:227], v[24:25], -v[48:49]
	s_mov_b32 s27, 0xbfd183b1
	v_mul_f64 v[146:147], v[230:231], s[46:47]
	s_mov_b32 s38, 0x4363dd80
	v_add_f64 v[74:75], v[76:77], v[74:75]
	v_add_f64 v[198:199], v[50:51], v[26:27]
	v_mul_f64 v[154:155], v[226:227], s[46:47]
	v_fma_f64 v[76:77], s[26:27], v[196:197], v[146:147]
	s_mov_b32 s24, 0x910ea3b9
	s_mov_b32 s39, 0x3fe0d888
	v_add_f64 v[64:65], v[76:77], v[64:65]
	v_fma_f64 v[76:77], v[198:199], s[26:27], -v[154:155]
	s_mov_b32 s25, 0xbfeb34fa
	v_mul_f64 v[166:167], v[230:231], s[38:39]
	v_add_f64 v[66:67], v[76:77], v[66:67]
	v_mul_f64 v[184:185], v[226:227], s[38:39]
	v_fma_f64 v[76:77], s[24:25], v[196:197], v[166:167]
	v_add_f64 v[234:235], v[18:19], -v[46:47]
	v_add_f64 v[72:73], v[76:77], v[72:73]
	v_fma_f64 v[76:77], v[198:199], s[24:25], -v[184:185]
	v_add_f64 v[206:207], v[16:17], v[44:45]
	v_add_f64 v[232:233], v[16:17], -v[44:45]
	v_mul_f64 v[156:157], v[234:235], s[34:35]
	v_add_f64 v[74:75], v[76:77], v[74:75]
	v_add_f64 v[208:209], v[18:19], v[46:47]
	v_mul_f64 v[162:163], v[232:233], s[34:35]
	v_fma_f64 v[76:77], s[18:19], v[206:207], v[156:157]
	s_mov_b32 s41, 0x3feec746
	s_mov_b32 s40, s46
	v_add_f64 v[64:65], v[76:77], v[64:65]
	v_fma_f64 v[76:77], v[208:209], s[18:19], -v[162:163]
	v_mul_f64 v[182:183], v[234:235], s[40:41]
	v_add_f64 v[66:67], v[76:77], v[66:67]
	v_mul_f64 v[200:201], v[232:233], s[40:41]
	v_fma_f64 v[76:77], s[26:27], v[206:207], v[182:183]
	v_add_f64 v[238:239], v[30:31], -v[42:43]
	s_mov_b32 s45, 0xbfe0d888
	s_mov_b32 s44, s38
	v_add_f64 v[72:73], v[76:77], v[72:73]
	v_fma_f64 v[76:77], v[208:209], s[26:27], -v[200:201]
	v_add_f64 v[210:211], v[40:41], v[28:29]
	v_add_f64 v[236:237], v[28:29], -v[40:41]
	v_mul_f64 v[164:165], v[238:239], s[44:45]
	v_add_f64 v[74:75], v[76:77], v[74:75]
	v_add_f64 v[202:203], v[42:43], v[30:31]
	v_mul_f64 v[178:179], v[236:237], s[44:45]
	v_fma_f64 v[76:77], s[24:25], v[210:211], v[164:165]
	s_mov_b32 s49, 0x3feca52d
	s_mov_b32 s48, s30
	v_add_f64 v[64:65], v[76:77], v[64:65]
	v_fma_f64 v[76:77], v[202:203], s[24:25], -v[178:179]
	v_mul_f64 v[194:195], v[238:239], s[48:49]
	v_add_f64 v[66:67], v[76:77], v[66:67]
	v_mul_f64 v[214:215], v[236:237], s[48:49]
	v_fma_f64 v[76:77], s[14:15], v[210:211], v[194:195]
	v_add_f64 v[242:243], v[38:39], -v[34:35]
	v_add_f64 v[72:73], v[76:77], v[72:73]
	v_fma_f64 v[76:77], v[202:203], s[14:15], -v[214:215]
	v_add_f64 v[218:219], v[32:33], v[36:37]
	v_add_f64 v[240:241], v[36:37], -v[32:33]
	v_mul_f64 v[180:181], v[242:243], s[42:43]
	v_add_f64 v[74:75], v[76:77], v[74:75]
	v_add_f64 v[220:221], v[34:35], v[38:39]
	v_mul_f64 v[190:191], v[240:241], s[42:43]
	v_fma_f64 v[76:77], s[20:21], v[218:219], v[180:181]
	s_mov_b32 s51, 0x3fd71e95
	s_mov_b32 s50, s22
	v_add_f64 v[64:65], v[76:77], v[64:65]
	v_fma_f64 v[76:77], v[220:221], s[20:21], -v[190:191]
	v_mul_f64 v[204:205], v[242:243], s[50:51]
	v_add_f64 v[66:67], v[76:77], v[66:67]
	v_mul_f64 v[222:223], v[240:241], s[50:51]
	v_fma_f64 v[76:77], s[0:1], v[218:219], v[204:205]
	v_add_f64 v[76:77], v[76:77], v[72:73]
	v_fma_f64 v[72:73], v[220:221], s[0:1], -v[222:223]
	v_add_f64 v[78:79], v[72:73], v[74:75]
	s_barrier
	s_and_saveexec_b64 s[6:7], vcc
	s_cbranch_execz .LBB0_7
; %bb.6:
	v_mul_f64 v[104:105], v[160:161], s[20:21]
	s_mov_b32 s53, 0x3fc7851a
	s_mov_b32 s52, s42
	v_mul_f64 v[100:101], v[172:173], s[0:1]
	v_fma_f64 v[106:107], s[52:53], v[168:169], v[104:105]
	v_mul_f64 v[114:115], v[116:117], s[42:43]
	v_mul_f64 v[96:97], v[176:177], s[24:25]
	v_fma_f64 v[102:103], s[22:23], v[192:193], v[100:101]
	v_add_f64 v[106:107], v[2:3], v[106:107]
	v_mul_f64 v[110:111], v[118:119], s[50:51]
	v_accvgpr_write_b32 a0, v246
	v_fma_f64 v[246:247], s[20:21], v[150:151], v[114:115]
	v_accvgpr_write_b32 a24, v88
	v_mul_f64 v[92:93], v[188:189], s[10:11]
	v_fma_f64 v[98:99], s[38:39], v[216:217], v[96:97]
	v_add_f64 v[102:103], v[102:103], v[106:107]
	s_mov_b32 s55, 0x3fe58eea
	s_mov_b32 s54, s36
	v_mul_f64 v[108:109], v[212:213], s[44:45]
	v_fma_f64 v[112:113], s[0:1], v[170:171], v[110:111]
	v_add_f64 v[246:247], v[0:1], v[246:247]
	v_accvgpr_write_b32 a16, v84
	v_accvgpr_write_b32 a25, v89
	v_mul_f64 v[88:89], v[198:199], s[18:19]
	s_mov_b32 s57, 0x3fe9895b
	s_mov_b32 s56, s34
	v_accvgpr_write_b32 a18, v90
	v_fma_f64 v[94:95], s[36:37], v[224:225], v[92:93]
	v_add_f64 v[98:99], v[98:99], v[102:103]
	v_mul_f64 v[106:107], v[228:229], s[54:55]
	v_add_f64 v[112:113], v[112:113], v[246:247]
	v_fma_f64 v[246:247], s[24:25], v[174:175], v[108:109]
	v_accvgpr_write_b32 a20, v82
	v_accvgpr_write_b32 a17, v85
	v_mul_f64 v[84:85], v[208:209], s[14:15]
	v_accvgpr_write_b32 a22, v86
	v_accvgpr_write_b32 a19, v91
	v_fma_f64 v[90:91], s[56:57], v[226:227], v[88:89]
	v_add_f64 v[94:95], v[94:95], v[98:99]
	v_mul_f64 v[102:103], v[230:231], s[34:35]
	v_add_f64 v[112:113], v[246:247], v[112:113]
	v_fma_f64 v[246:247], s[10:11], v[186:187], v[106:107]
	v_accvgpr_write_b32 a10, v80
	v_accvgpr_write_b32 a21, v83
	v_mul_f64 v[82:83], v[202:203], s[26:27]
	v_accvgpr_write_b32 a23, v87
	v_fma_f64 v[86:87], s[30:31], v[232:233], v[84:85]
	v_add_f64 v[90:91], v[90:91], v[94:95]
	v_mul_f64 v[98:99], v[234:235], s[48:49]
	v_add_f64 v[112:113], v[246:247], v[112:113]
	v_fma_f64 v[246:247], s[18:19], v[196:197], v[102:103]
	v_accvgpr_write_b32 a11, v81
	v_mul_f64 v[80:81], v[220:221], s[16:17]
	v_fma_f64 v[74:75], s[40:41], v[236:237], v[82:83]
	v_add_f64 v[86:87], v[86:87], v[90:91]
	s_mov_b32 s59, 0x3fefdd0d
	s_mov_b32 s58, s28
	v_mul_f64 v[90:91], v[238:239], s[46:47]
	v_add_f64 v[112:113], v[246:247], v[112:113]
	v_fma_f64 v[246:247], s[14:15], v[206:207], v[98:99]
	v_fma_f64 v[72:73], s[28:29], v[240:241], v[80:81]
	v_add_f64 v[74:75], v[74:75], v[86:87]
	v_mul_f64 v[86:87], v[242:243], s[58:59]
	v_fma_f64 v[94:95], s[26:27], v[210:211], v[90:91]
	v_add_f64 v[112:113], v[246:247], v[112:113]
	v_add_f64 v[74:75], v[72:73], v[74:75]
	v_fma_f64 v[72:73], s[16:17], v[218:219], v[86:87]
	v_add_f64 v[94:95], v[94:95], v[112:113]
	v_fmac_f64_e32 v[104:105], s[42:43], v[168:169]
	v_add_f64 v[72:73], v[72:73], v[94:95]
	v_fmac_f64_e32 v[100:101], s[50:51], v[192:193]
	;; [unrolled: 2-line block ×6, first 2 shown]
	v_add_f64 v[88:89], v[88:89], v[92:93]
	v_fma_f64 v[96:97], v[150:151], s[20:21], -v[114:115]
	v_fmac_f64_e32 v[82:83], s[46:47], v[236:237]
	v_add_f64 v[84:85], v[84:85], v[88:89]
	v_fma_f64 v[94:95], v[170:171], s[0:1], -v[110:111]
	v_add_f64 v[96:97], v[0:1], v[96:97]
	v_mul_f64 v[110:111], v[160:161], s[24:25]
	v_add_f64 v[82:83], v[82:83], v[84:85]
	v_fma_f64 v[84:85], v[210:211], s[26:27], -v[90:91]
	v_fma_f64 v[90:91], v[186:187], s[10:11], -v[106:107]
	;; [unrolled: 1-line block ×3, first 2 shown]
	v_add_f64 v[94:95], v[94:95], v[96:97]
	v_mul_f64 v[106:107], v[172:173], s[14:15]
	v_fma_f64 v[112:113], s[38:39], v[168:169], v[110:111]
	v_accvgpr_write_b32 a6, v72
	v_fmac_f64_e32 v[80:81], s[58:59], v[240:241]
	v_fma_f64 v[88:89], v[196:197], s[18:19], -v[102:103]
	v_add_f64 v[92:93], v[92:93], v[94:95]
	v_mul_f64 v[102:103], v[176:177], s[16:17]
	v_fma_f64 v[108:109], s[30:31], v[192:193], v[106:107]
	v_add_f64 v[112:113], v[2:3], v[112:113]
	v_accvgpr_write_b32 a7, v73
	v_accvgpr_write_b32 a8, v74
	;; [unrolled: 1-line block ×3, first 2 shown]
	v_add_f64 v[74:75], v[80:81], v[82:83]
	v_fma_f64 v[80:81], v[218:219], s[16:17], -v[86:87]
	v_fma_f64 v[86:87], v[206:207], s[14:15], -v[98:99]
	v_add_f64 v[90:91], v[90:91], v[92:93]
	v_mul_f64 v[98:99], v[188:189], s[18:19]
	v_fma_f64 v[104:105], s[58:59], v[216:217], v[102:103]
	v_add_f64 v[108:109], v[108:109], v[112:113]
	v_add_f64 v[88:89], v[88:89], v[90:91]
	v_mul_f64 v[94:95], v[198:199], s[0:1]
	v_fma_f64 v[100:101], s[34:35], v[224:225], v[98:99]
	v_add_f64 v[104:105], v[104:105], v[108:109]
	;; [unrolled: 4-line block ×4, first 2 shown]
	v_mul_f64 v[246:247], v[116:117], s[44:45]
	v_add_f64 v[72:73], v[80:81], v[84:85]
	v_fma_f64 v[84:85], s[36:37], v[236:237], v[90:91]
	v_add_f64 v[86:87], v[86:87], v[96:97]
	v_mul_f64 v[114:115], v[118:119], s[48:49]
	v_accvgpr_write_b32 a2, v248
	v_fma_f64 v[248:249], s[24:25], v[150:151], v[246:247]
	v_fmac_f64_e32 v[110:111], s[44:45], v[168:169]
	v_add_f64 v[84:85], v[84:85], v[86:87]
	v_mul_f64 v[112:113], v[212:213], s[28:29]
	v_fma_f64 v[86:87], s[14:15], v[170:171], v[114:115]
	v_add_f64 v[248:249], v[0:1], v[248:249]
	v_fmac_f64_e32 v[106:107], s[48:49], v[192:193]
	v_add_f64 v[110:111], v[2:3], v[110:111]
	v_mul_f64 v[108:109], v[228:229], s[56:57]
	v_add_f64 v[86:87], v[86:87], v[248:249]
	v_fma_f64 v[248:249], s[16:17], v[174:175], v[112:113]
	v_fmac_f64_e32 v[102:103], s[28:29], v[216:217]
	v_add_f64 v[106:107], v[106:107], v[110:111]
	v_mul_f64 v[104:105], v[230:231], s[22:23]
	v_add_f64 v[86:87], v[248:249], v[86:87]
	v_fma_f64 v[248:249], s[18:19], v[186:187], v[108:109]
	;; [unrolled: 5-line block ×5, first 2 shown]
	v_fmac_f64_e32 v[90:91], s[54:55], v[236:237]
	v_add_f64 v[92:93], v[92:93], v[94:95]
	v_add_f64 v[248:249], v[248:249], v[86:87]
	v_fma_f64 v[86:87], s[40:41], v[240:241], v[88:89]
	v_accvgpr_write_b32 a4, v250
	v_mul_f64 v[250:251], v[242:243], s[46:47]
	v_add_f64 v[90:91], v[90:91], v[92:93]
	v_fma_f64 v[92:93], v[210:211], s[10:11], -v[96:97]
	v_fma_f64 v[96:97], v[196:197], s[0:1], -v[104:105]
	;; [unrolled: 1-line block ×3, first 2 shown]
	v_add_f64 v[86:87], v[86:87], v[84:85]
	v_fma_f64 v[84:85], s[26:27], v[218:219], v[250:251]
	v_fma_f64 v[102:103], v[170:171], s[14:15], -v[114:115]
	v_add_f64 v[104:105], v[0:1], v[104:105]
	v_mul_f64 v[246:247], v[160:161], s[18:19]
	v_add_f64 v[84:85], v[84:85], v[248:249]
	v_fma_f64 v[94:95], v[206:207], s[20:21], -v[100:101]
	v_fma_f64 v[100:101], v[174:175], s[16:17], -v[112:113]
	v_add_f64 v[102:103], v[102:103], v[104:105]
	v_mul_f64 v[112:113], v[172:173], s[26:27]
	v_fma_f64 v[248:249], s[56:57], v[168:169], v[246:247]
	v_fma_f64 v[98:99], v[186:187], s[18:19], -v[108:109]
	v_add_f64 v[100:101], v[100:101], v[102:103]
	v_mul_f64 v[108:109], v[176:177], s[0:1]
	v_fma_f64 v[114:115], s[46:47], v[192:193], v[112:113]
	v_add_f64 v[248:249], v[2:3], v[248:249]
	v_add_f64 v[98:99], v[98:99], v[100:101]
	v_mul_f64 v[104:105], v[188:189], s[24:25]
	v_fma_f64 v[110:111], s[50:51], v[216:217], v[108:109]
	v_add_f64 v[114:115], v[114:115], v[248:249]
	;; [unrolled: 4-line block ×3, first 2 shown]
	v_fmac_f64_e32 v[88:89], s[46:47], v[240:241]
	v_add_f64 v[94:95], v[94:95], v[96:97]
	v_mul_f64 v[98:99], v[208:209], s[10:11]
	v_fma_f64 v[102:103], s[28:29], v[226:227], v[100:101]
	v_add_f64 v[106:107], v[106:107], v[110:111]
	v_add_f64 v[90:91], v[88:89], v[90:91]
	v_fma_f64 v[88:89], v[218:219], s[26:27], -v[250:251]
	v_add_f64 v[92:93], v[92:93], v[94:95]
	v_mul_f64 v[96:97], v[202:203], s[20:21]
	v_fma_f64 v[94:95], s[54:55], v[232:233], v[98:99]
	v_add_f64 v[102:103], v[102:103], v[106:107]
	v_mul_f64 v[114:115], v[116:117], s[34:35]
	v_add_f64 v[88:89], v[88:89], v[92:93]
	v_fma_f64 v[92:93], s[52:53], v[236:237], v[96:97]
	v_add_f64 v[94:95], v[94:95], v[102:103]
	v_mul_f64 v[110:111], v[118:119], s[40:41]
	v_fma_f64 v[248:249], s[18:19], v[150:151], v[114:115]
	v_add_f64 v[92:93], v[92:93], v[94:95]
	v_mul_f64 v[106:107], v[212:213], s[22:23]
	;; [unrolled: 3-line block ×3, first 2 shown]
	v_add_f64 v[94:95], v[94:95], v[248:249]
	v_fma_f64 v[248:249], s[0:1], v[174:175], v[106:107]
	v_add_f64 v[94:95], v[248:249], v[94:95]
	v_fma_f64 v[248:249], s[24:25], v[186:187], v[102:103]
	v_fmac_f64_e32 v[246:247], s[34:35], v[168:169]
	v_add_f64 v[94:95], v[248:249], v[94:95]
	v_mul_f64 v[248:249], v[230:231], s[58:59]
	v_fmac_f64_e32 v[112:113], s[40:41], v[192:193]
	v_add_f64 v[246:247], v[2:3], v[246:247]
	v_fma_f64 v[250:251], s[16:17], v[196:197], v[248:249]
	v_add_f64 v[112:113], v[112:113], v[246:247]
	v_fmac_f64_e32 v[108:109], s[22:23], v[216:217]
	v_add_f64 v[94:95], v[250:251], v[94:95]
	v_mul_f64 v[250:251], v[234:235], s[36:37]
	v_add_f64 v[108:109], v[108:109], v[112:113]
	v_fmac_f64_e32 v[104:105], s[44:45], v[224:225]
	v_fma_f64 v[112:113], v[150:151], s[18:19], -v[114:115]
	v_fma_f64 v[252:253], s[10:11], v[206:207], v[250:251]
	v_add_f64 v[104:105], v[104:105], v[108:109]
	v_fmac_f64_e32 v[100:101], s[58:59], v[226:227]
	v_fma_f64 v[110:111], v[170:171], s[26:27], -v[110:111]
	v_add_f64 v[112:113], v[0:1], v[112:113]
	v_add_f64 v[94:95], v[252:253], v[94:95]
	v_mul_f64 v[252:253], v[238:239], s[42:43]
	v_add_f64 v[100:101], v[100:101], v[104:105]
	v_fmac_f64_e32 v[98:99], s[36:37], v[232:233]
	v_fma_f64 v[106:107], v[174:175], s[0:1], -v[106:107]
	v_add_f64 v[110:111], v[110:111], v[112:113]
	v_fma_f64 v[254:255], s[20:21], v[210:211], v[252:253]
	v_mul_f64 v[120:121], v[220:221], s[14:15]
	v_fmac_f64_e32 v[96:97], s[42:43], v[236:237]
	v_add_f64 v[98:99], v[98:99], v[100:101]
	v_fma_f64 v[102:103], v[186:187], s[24:25], -v[102:103]
	v_add_f64 v[106:107], v[106:107], v[110:111]
	v_add_f64 v[254:255], v[254:255], v[94:95]
	v_fma_f64 v[94:95], s[30:31], v[240:241], v[120:121]
	v_fmac_f64_e32 v[120:121], s[48:49], v[240:241]
	v_add_f64 v[96:97], v[96:97], v[98:99]
	v_fma_f64 v[108:109], v[196:197], s[16:17], -v[248:249]
	v_add_f64 v[102:103], v[102:103], v[106:107]
	v_mul_f64 v[122:123], v[242:243], s[48:49]
	v_add_f64 v[98:99], v[120:121], v[96:97]
	v_fma_f64 v[104:105], v[206:207], s[10:11], -v[250:251]
	v_add_f64 v[102:103], v[108:109], v[102:103]
	v_mul_f64 v[120:121], v[160:161], s[26:27]
	v_add_f64 v[94:95], v[94:95], v[92:93]
	v_fma_f64 v[92:93], s[14:15], v[218:219], v[122:123]
	v_fma_f64 v[96:97], v[218:219], s[14:15], -v[122:123]
	v_fma_f64 v[100:101], v[210:211], s[20:21], -v[252:253]
	v_add_f64 v[102:103], v[104:105], v[102:103]
	v_mul_f64 v[114:115], v[172:173], s[24:25]
	v_fma_f64 v[122:123], s[40:41], v[168:169], v[120:121]
	v_add_f64 v[100:101], v[100:101], v[102:103]
	v_mul_f64 v[112:113], v[176:177], s[10:11]
	v_fma_f64 v[102:103], s[44:45], v[192:193], v[114:115]
	v_add_f64 v[122:123], v[2:3], v[122:123]
	v_mul_f64 v[110:111], v[188:189], s[14:15]
	v_add_f64 v[102:103], v[102:103], v[122:123]
	v_fma_f64 v[122:123], s[36:37], v[216:217], v[112:113]
	v_mul_f64 v[108:109], v[198:199], s[20:21]
	v_add_f64 v[102:103], v[122:123], v[102:103]
	v_fma_f64 v[122:123], s[48:49], v[224:225], v[110:111]
	;; [unrolled: 3-line block ×4, first 2 shown]
	v_add_f64 v[96:97], v[96:97], v[100:101]
	v_fma_f64 v[100:101], s[50:51], v[236:237], v[104:105]
	v_add_f64 v[102:103], v[122:123], v[102:103]
	v_mul_f64 v[122:123], v[116:117], s[46:47]
	v_add_f64 v[100:101], v[100:101], v[102:103]
	v_fma_f64 v[102:103], s[26:27], v[150:151], v[122:123]
	v_mul_f64 v[246:247], v[118:119], s[38:39]
	v_add_f64 v[102:103], v[0:1], v[102:103]
	v_fma_f64 v[248:249], s[24:25], v[170:171], v[246:247]
	v_add_f64 v[102:103], v[248:249], v[102:103]
	v_mul_f64 v[248:249], v[212:213], s[54:55]
	v_fma_f64 v[250:251], s[10:11], v[174:175], v[248:249]
	v_add_f64 v[102:103], v[250:251], v[102:103]
	v_mul_f64 v[250:251], v[228:229], s[30:31]
	;; [unrolled: 3-line block ×3, first 2 shown]
	v_add_f64 v[92:93], v[92:93], v[254:255]
	v_fma_f64 v[254:255], s[20:21], v[196:197], v[252:253]
	v_accvgpr_write_b32 a12, v72
	v_add_f64 v[102:103], v[254:255], v[102:103]
	v_mul_f64 v[254:255], v[234:235], s[58:59]
	v_accvgpr_write_b32 a13, v73
	v_accvgpr_write_b32 a14, v74
	v_accvgpr_write_b32 a15, v75
	v_fma_f64 v[72:73], s[16:17], v[206:207], v[254:255]
	v_mul_f64 v[74:75], v[238:239], s[22:23]
	v_add_f64 v[72:73], v[72:73], v[102:103]
	v_fma_f64 v[102:103], s[0:1], v[210:211], v[74:75]
	v_mul_f64 v[124:125], v[220:221], s[18:19]
	v_add_f64 v[72:73], v[102:103], v[72:73]
	;; [unrolled: 3-line block ×3, first 2 shown]
	v_fma_f64 v[100:101], s[18:19], v[218:219], v[126:127]
	v_fmac_f64_e32 v[120:121], s[46:47], v[168:169]
	v_add_f64 v[100:101], v[100:101], v[72:73]
	v_fmac_f64_e32 v[114:115], s[38:39], v[192:193]
	v_add_f64 v[72:73], v[2:3], v[120:121]
	v_add_f64 v[72:73], v[114:115], v[72:73]
	v_fmac_f64_e32 v[112:113], s[54:55], v[216:217]
	v_add_f64 v[72:73], v[112:113], v[72:73]
	v_fmac_f64_e32 v[110:111], s[30:31], v[224:225]
	;; [unrolled: 2-line block ×5, first 2 shown]
	v_fma_f64 v[106:107], v[150:151], s[26:27], -v[122:123]
	v_add_f64 v[72:73], v[104:105], v[72:73]
	v_fma_f64 v[104:105], v[170:171], s[24:25], -v[246:247]
	v_add_f64 v[106:107], v[0:1], v[106:107]
	v_add_f64 v[104:105], v[104:105], v[106:107]
	v_fma_f64 v[106:107], v[174:175], s[10:11], -v[248:249]
	v_add_f64 v[104:105], v[106:107], v[104:105]
	v_fma_f64 v[112:113], v[186:187], s[14:15], -v[250:251]
	v_fma_f64 v[110:111], v[196:197], s[20:21], -v[252:253]
	v_add_f64 v[104:105], v[112:113], v[104:105]
	v_fma_f64 v[108:109], v[206:207], s[16:17], -v[254:255]
	v_add_f64 v[104:105], v[110:111], v[104:105]
	v_fmac_f64_e32 v[124:125], s[34:35], v[240:241]
	v_fma_f64 v[74:75], v[210:211], s[0:1], -v[74:75]
	v_add_f64 v[104:105], v[108:109], v[104:105]
	v_mul_f64 v[114:115], v[160:161], s[16:17]
	v_add_f64 v[106:107], v[124:125], v[72:73]
	v_fma_f64 v[72:73], v[218:219], s[18:19], -v[126:127]
	v_add_f64 v[74:75], v[74:75], v[104:105]
	v_mul_f64 v[112:113], v[172:173], s[20:21]
	v_fma_f64 v[110:111], s[58:59], v[168:169], v[114:115]
	v_add_f64 v[104:105], v[72:73], v[74:75]
	v_mul_f64 v[74:75], v[176:177], s[26:27]
	v_fma_f64 v[108:109], s[52:53], v[192:193], v[112:113]
	v_add_f64 v[110:111], v[2:3], v[110:111]
	v_mul_f64 v[72:73], v[188:189], s[0:1]
	v_add_f64 v[108:109], v[108:109], v[110:111]
	v_fma_f64 v[110:111], s[46:47], v[216:217], v[74:75]
	v_add_f64 v[108:109], v[110:111], v[108:109]
	v_fma_f64 v[110:111], s[22:23], v[224:225], v[72:73]
	v_mul_f64 v[120:121], v[198:199], s[14:15]
	v_add_f64 v[108:109], v[110:111], v[108:109]
	v_fma_f64 v[110:111], s[48:49], v[226:227], v[120:121]
	v_mul_f64 v[122:123], v[208:209], s[24:25]
	;; [unrolled: 3-line block ×5, first 2 shown]
	v_add_f64 v[110:111], v[0:1], v[110:111]
	v_fma_f64 v[248:249], s[20:21], v[170:171], v[246:247]
	v_add_f64 v[110:111], v[248:249], v[110:111]
	v_mul_f64 v[248:249], v[212:213], s[40:41]
	v_fma_f64 v[250:251], s[26:27], v[174:175], v[248:249]
	v_add_f64 v[110:111], v[250:251], v[110:111]
	v_mul_f64 v[250:251], v[228:229], s[50:51]
	;; [unrolled: 3-line block ×4, first 2 shown]
	v_fma_f64 v[80:81], s[24:25], v[206:207], v[254:255]
	v_mul_f64 v[82:83], v[238:239], s[56:57]
	v_add_f64 v[80:81], v[80:81], v[110:111]
	v_fma_f64 v[110:111], s[18:19], v[210:211], v[82:83]
	v_mul_f64 v[128:129], v[220:221], s[10:11]
	v_add_f64 v[80:81], v[110:111], v[80:81]
	v_fma_f64 v[110:111], s[36:37], v[240:241], v[128:129]
	v_mul_f64 v[130:131], v[242:243], s[54:55]
	v_add_f64 v[110:111], v[110:111], v[108:109]
	v_fma_f64 v[108:109], s[10:11], v[218:219], v[130:131]
	v_fmac_f64_e32 v[114:115], s[28:29], v[168:169]
	v_add_f64 v[108:109], v[108:109], v[80:81]
	v_fmac_f64_e32 v[112:113], s[42:43], v[192:193]
	v_add_f64 v[80:81], v[2:3], v[114:115]
	v_add_f64 v[80:81], v[112:113], v[80:81]
	v_fmac_f64_e32 v[74:75], s[40:41], v[216:217]
	v_add_f64 v[74:75], v[74:75], v[80:81]
	v_fmac_f64_e32 v[72:73], s[50:51], v[224:225]
	v_fma_f64 v[80:81], v[150:151], s[16:17], -v[126:127]
	v_add_f64 v[72:73], v[72:73], v[74:75]
	v_fma_f64 v[74:75], v[170:171], s[20:21], -v[246:247]
	v_add_f64 v[80:81], v[0:1], v[80:81]
	v_add_f64 v[74:75], v[74:75], v[80:81]
	v_fma_f64 v[80:81], v[174:175], s[26:27], -v[248:249]
	v_fmac_f64_e32 v[120:121], s[30:31], v[226:227]
	v_add_f64 v[74:75], v[80:81], v[74:75]
	v_fma_f64 v[80:81], v[186:187], s[0:1], -v[250:251]
	v_add_f64 v[72:73], v[120:121], v[72:73]
	v_fmac_f64_e32 v[122:123], s[44:45], v[232:233]
	v_add_f64 v[74:75], v[80:81], v[74:75]
	v_fma_f64 v[80:81], v[196:197], s[14:15], -v[252:253]
	v_add_f64 v[72:73], v[122:123], v[72:73]
	;; [unrolled: 4-line block ×3, first 2 shown]
	v_add_f64 v[74:75], v[80:81], v[74:75]
	v_fma_f64 v[80:81], v[210:211], s[18:19], -v[82:83]
	v_fmac_f64_e32 v[128:129], s[54:55], v[240:241]
	v_add_f64 v[74:75], v[80:81], v[74:75]
	v_add_f64 v[114:115], v[128:129], v[72:73]
	v_fma_f64 v[72:73], v[218:219], s[10:11], -v[130:131]
	v_add_f64 v[112:113], v[72:73], v[74:75]
	v_mul_f64 v[72:73], v[160:161], s[14:15]
	v_fma_f64 v[74:75], s[48:49], v[168:169], v[72:73]
	v_mul_f64 v[80:81], v[172:173], s[18:19]
	v_add_f64 v[74:75], v[2:3], v[74:75]
	v_fma_f64 v[82:83], s[56:57], v[192:193], v[80:81]
	v_add_f64 v[74:75], v[82:83], v[74:75]
	v_mul_f64 v[82:83], v[176:177], s[20:21]
	v_fma_f64 v[120:121], s[42:43], v[216:217], v[82:83]
	v_add_f64 v[74:75], v[120:121], v[74:75]
	v_mul_f64 v[120:121], v[188:189], s[26:27]
	;; [unrolled: 3-line block ×5, first 2 shown]
	v_fmac_f64_e32 v[72:73], s[30:31], v[168:169]
	v_fma_f64 v[128:129], s[58:59], v[236:237], v[126:127]
	v_mul_f64 v[130:131], v[116:117], s[30:31]
	v_fmac_f64_e32 v[80:81], s[34:35], v[192:193]
	v_add_f64 v[72:73], v[2:3], v[72:73]
	v_add_f64 v[74:75], v[128:129], v[74:75]
	v_mul_f64 v[128:129], v[118:119], s[34:35]
	v_fma_f64 v[116:117], s[14:15], v[150:151], v[130:131]
	v_fmac_f64_e32 v[82:83], s[52:53], v[216:217]
	v_add_f64 v[72:73], v[80:81], v[72:73]
	v_add_f64 v[116:117], v[0:1], v[116:117]
	v_fma_f64 v[118:119], s[18:19], v[170:171], v[128:129]
	v_mul_f64 v[212:213], v[212:213], s[52:53]
	v_fmac_f64_e32 v[120:121], s[40:41], v[224:225]
	v_add_f64 v[72:73], v[82:83], v[72:73]
	v_add_f64 v[116:117], v[118:119], v[116:117]
	v_fma_f64 v[118:119], s[20:21], v[174:175], v[212:213]
	v_mul_f64 v[228:229], v[228:229], s[40:41]
	v_fmac_f64_e32 v[122:123], s[54:55], v[226:227]
	v_add_f64 v[72:73], v[120:121], v[72:73]
	v_fma_f64 v[130:131], v[150:151], s[14:15], -v[130:131]
	v_add_f64 v[116:117], v[118:119], v[116:117]
	v_fma_f64 v[118:119], s[26:27], v[186:187], v[228:229]
	v_mul_f64 v[230:231], v[230:231], s[54:55]
	v_fmac_f64_e32 v[124:125], s[22:23], v[232:233]
	v_add_f64 v[72:73], v[122:123], v[72:73]
	v_fma_f64 v[128:129], v[170:171], s[18:19], -v[128:129]
	v_add_f64 v[130:131], v[0:1], v[130:131]
	v_add_f64 v[116:117], v[118:119], v[116:117]
	v_fma_f64 v[118:119], s[10:11], v[196:197], v[230:231]
	v_mul_f64 v[234:235], v[234:235], s[22:23]
	v_fmac_f64_e32 v[126:127], s[28:29], v[236:237]
	v_mul_f64 v[80:81], v[150:151], s[0:1]
	v_mul_f64 v[82:83], v[160:161], s[0:1]
	;; [unrolled: 1-line block ×4, first 2 shown]
	v_add_f64 v[72:73], v[124:125], v[72:73]
	v_mul_f64 v[124:125], v[170:171], s[16:17]
	v_fma_f64 v[150:151], v[174:175], s[20:21], -v[212:213]
	v_add_f64 v[128:129], v[128:129], v[130:131]
	v_add_f64 v[116:117], v[118:119], v[116:117]
	v_fma_f64 v[118:119], s[0:1], v[206:207], v[234:235]
	v_mul_f64 v[238:239], v[238:239], s[28:29]
	v_add_f64 v[72:73], v[126:127], v[72:73]
	v_mul_f64 v[126:127], v[172:173], s[16:17]
	v_add_f64 v[128:129], v[150:151], v[128:129]
	v_fma_f64 v[150:151], v[186:187], s[26:27], -v[228:229]
	v_add_f64 v[132:133], v[132:133], v[160:161]
	v_add_f64 v[124:125], v[124:125], -v[134:135]
	v_accvgpr_read_b32 v135, a25
	v_add_f64 v[116:117], v[118:119], v[116:117]
	v_fma_f64 v[118:119], s[16:17], v[210:211], v[238:239]
	v_mul_f64 v[246:247], v[220:221], s[24:25]
	v_mul_f64 v[216:217], v[176:177], s[14:15]
	;; [unrolled: 1-line block ×3, first 2 shown]
	v_add_f64 v[128:129], v[150:151], v[128:129]
	v_fma_f64 v[150:151], v[196:197], s[10:11], -v[230:231]
	v_add_f64 v[126:127], v[140:141], v[126:127]
	v_add_f64 v[132:133], v[2:3], v[132:133]
	v_accvgpr_read_b32 v134, a24
	v_add_f64 v[116:117], v[118:119], v[116:117]
	v_fma_f64 v[118:119], s[38:39], v[240:241], v[246:247]
	v_mul_f64 v[212:213], v[188:189], s[16:17]
	v_mul_f64 v[188:189], v[188:189], s[20:21]
	v_add_f64 v[128:129], v[150:151], v[128:129]
	v_fma_f64 v[168:169], v[206:207], s[0:1], -v[234:235]
	v_add_f64 v[148:149], v[148:149], v[176:177]
	v_add_f64 v[126:127], v[126:127], v[132:133]
	v_add_f64 v[120:121], v[120:121], -v[134:135]
	v_add_f64 v[118:119], v[118:119], v[74:75]
	v_mul_f64 v[74:75], v[242:243], s[44:45]
	v_fmac_f64_e32 v[246:247], s[44:45], v[240:241]
	v_mul_f64 v[122:123], v[172:173], s[10:11]
	v_mul_f64 v[172:173], v[174:175], s[14:15]
	;; [unrolled: 1-line block ×4, first 2 shown]
	v_add_f64 v[128:129], v[168:169], v[128:129]
	v_fma_f64 v[168:169], v[210:211], s[16:17], -v[238:239]
	v_add_f64 v[158:159], v[158:159], v[188:189]
	v_add_f64 v[126:127], v[148:149], v[126:127]
	;; [unrolled: 1-line block ×3, first 2 shown]
	v_accvgpr_read_b32 v135, a23
	v_mul_f64 v[192:193], v[170:171], s[10:11]
	v_mul_f64 v[130:131], v[186:187], s[16:17]
	;; [unrolled: 1-line block ×3, first 2 shown]
	v_add_f64 v[128:129], v[168:169], v[128:129]
	v_mul_f64 v[228:229], v[208:209], s[18:19]
	v_mul_f64 v[208:209], v[208:209], s[26:27]
	v_add_f64 v[170:171], v[246:247], v[72:73]
	v_fma_f64 v[72:73], v[218:219], s[24:25], -v[74:75]
	v_add_f64 v[150:151], v[184:185], v[150:151]
	v_add_f64 v[126:127], v[158:159], v[126:127]
	v_add_f64 v[144:145], v[174:175], -v[144:145]
	v_add_f64 v[120:121], v[124:125], v[120:121]
	v_accvgpr_read_b32 v134, a22
	v_mul_f64 v[224:225], v[196:197], s[26:27]
	v_mul_f64 v[196:197], v[196:197], s[24:25]
	v_add_f64 v[168:169], v[72:73], v[128:129]
	v_mul_f64 v[128:129], v[202:203], s[24:25]
	v_mul_f64 v[202:203], v[202:203], s[14:15]
	v_add_f64 v[200:201], v[200:201], v[208:209]
	v_add_f64 v[126:127], v[150:151], v[126:127]
	v_add_f64 v[148:149], v[186:187], -v[152:153]
	v_add_f64 v[120:121], v[144:145], v[120:121]
	v_add_f64 v[122:123], v[134:135], v[122:123]
	v_accvgpr_read_b32 v135, a21
	v_fma_f64 v[242:243], s[24:25], v[218:219], v[74:75]
	v_mul_f64 v[226:227], v[198:199], s[26:27]
	v_mul_f64 v[198:199], v[206:207], s[18:19]
	;; [unrolled: 1-line block ×4, first 2 shown]
	v_add_f64 v[202:203], v[214:215], v[202:203]
	v_add_f64 v[126:127], v[200:201], v[126:127]
	v_add_f64 v[140:141], v[196:197], -v[166:167]
	v_add_f64 v[120:121], v[148:149], v[120:121]
	v_accvgpr_read_b32 v134, a20
	v_mul_f64 v[72:73], v[210:211], s[24:25]
	v_add_f64 v[74:75], v[222:223], v[74:75]
	v_mul_f64 v[210:211], v[210:211], s[14:15]
	v_add_f64 v[126:127], v[202:203], v[126:127]
	v_add_f64 v[132:133], v[206:207], -v[182:183]
	v_add_f64 v[120:121], v[140:141], v[120:121]
	v_add_f64 v[82:83], v[134:135], v[82:83]
	v_mul_f64 v[214:215], v[218:219], s[20:21]
	v_mul_f64 v[218:219], v[218:219], s[0:1]
	v_add_f64 v[150:151], v[74:75], v[126:127]
	v_add_f64 v[126:127], v[210:211], -v[194:195]
	v_add_f64 v[120:121], v[132:133], v[120:121]
	v_add_f64 v[82:83], v[2:3], v[82:83]
	v_add_f64 v[74:75], v[218:219], -v[204:205]
	v_add_f64 v[120:121], v[126:127], v[120:121]
	v_add_f64 v[132:133], v[136:137], v[216:217]
	;; [unrolled: 1-line block ×12, first 2 shown]
	v_add_f64 v[124:125], v[130:131], -v[138:139]
	v_accvgpr_read_b32 v131, a11
	v_accvgpr_read_b32 v130, a10
	v_add_f64 v[80:81], v[80:81], -v[130:131]
	v_add_f64 v[80:81], v[0:1], v[80:81]
	v_add_f64 v[2:3], v[2:3], v[6:7]
	;; [unrolled: 1-line block ×15, first 2 shown]
	v_accvgpr_read_b32 v129, a17
	v_add_f64 v[2:3], v[38:39], v[2:3]
	v_add_f64 v[0:1], v[36:37], v[0:1]
	v_accvgpr_read_b32 v127, a19
	v_accvgpr_read_b32 v128, a16
	v_add_f64 v[2:3], v[34:35], v[2:3]
	v_add_f64 v[0:1], v[32:33], v[0:1]
	v_accvgpr_read_b32 v126, a18
	v_add_f64 v[128:129], v[192:193], -v[128:129]
	v_add_f64 v[2:3], v[42:43], v[2:3]
	v_add_f64 v[0:1], v[40:41], v[0:1]
	v_add_f64 v[126:127], v[172:173], -v[126:127]
	v_add_f64 v[80:81], v[128:129], v[80:81]
	v_add_f64 v[2:3], v[46:47], v[2:3]
	v_add_f64 v[0:1], v[44:45], v[0:1]
	v_mul_f64 v[220:221], v[220:221], s[20:21]
	v_add_f64 v[80:81], v[126:127], v[80:81]
	v_add_f64 v[2:3], v[50:51], v[2:3]
	v_add_f64 v[0:1], v[48:49], v[0:1]
	v_add_f64 v[74:75], v[190:191], v[220:221]
	v_add_f64 v[82:83], v[120:121], v[82:83]
	v_add_f64 v[120:121], v[224:225], -v[146:147]
	v_add_f64 v[80:81], v[124:125], v[80:81]
	v_add_f64 v[2:3], v[54:55], v[2:3]
	v_add_f64 v[0:1], v[52:53], v[0:1]
	v_accvgpr_read_b32 v246, a0
	v_add_f64 v[122:123], v[74:75], v[82:83]
	v_add_f64 v[82:83], v[198:199], -v[156:157]
	v_add_f64 v[80:81], v[120:121], v[80:81]
	v_add_f64 v[2:3], v[58:59], v[2:3]
	;; [unrolled: 1-line block ×3, first 2 shown]
	v_add_f64 v[72:73], v[72:73], -v[164:165]
	v_add_f64 v[80:81], v[82:83], v[80:81]
	v_add_f64 v[2:3], v[62:63], v[2:3]
	;; [unrolled: 1-line block ×3, first 2 shown]
	v_mul_lo_u16_e32 v4, 17, v246
	v_accvgpr_read_b32 v248, a2
	v_accvgpr_read_b32 v250, a4
	v_add_f64 v[74:75], v[214:215], -v[180:181]
	v_add_f64 v[72:73], v[72:73], v[80:81]
	v_add_f64 v[2:3], v[70:71], v[2:3]
	;; [unrolled: 1-line block ×3, first 2 shown]
	v_add_lshl_u32 v4, v244, v4, 4
	v_add_f64 v[116:117], v[242:243], v[116:117]
	v_add_f64 v[120:121], v[74:75], v[72:73]
	ds_write_b128 v4, v[0:3]
	ds_write_b128 v4, v[120:123] offset:16
	ds_write_b128 v4, v[148:151] offset:32
	;; [unrolled: 1-line block ×16, first 2 shown]
.LBB0_7:
	s_or_b64 exec, exec, s[6:7]
	v_add_lshl_u32 v36, v244, v246, 4
	s_waitcnt lgkmcnt(0)
	s_barrier
	ds_read_b128 v[88:91], v36
	ds_read_b128 v[84:87], v36 offset:1360
	ds_read_b128 v[120:123], v36 offset:8704
	;; [unrolled: 1-line block ×14, first 2 shown]
	v_cmp_gt_u16_e64 s[0:1], 17, v246
                                        ; implicit-def: $vgpr68_vgpr69
                                        ; implicit-def: $vgpr116_vgpr117
                                        ; implicit-def: $vgpr132_vgpr133
	s_and_saveexec_b64 s[6:7], s[0:1]
	s_cbranch_execz .LBB0_9
; %bb.8:
	ds_read_b128 v[76:79], v36 offset:4080
	ds_read_b128 v[64:67], v36 offset:8432
	;; [unrolled: 1-line block ×5, first 2 shown]
.LBB0_9:
	s_or_b64 exec, exec, s[6:7]
	s_movk_i32 s6, 0xf1
	v_mul_lo_u16_sdwa v0, v246, s6 dst_sel:DWORD dst_unused:UNUSED_PAD src0_sel:BYTE_0 src1_sel:DWORD
	v_lshrrev_b16_e32 v37, 12, v0
	v_mul_lo_u16_e32 v0, 17, v37
	v_sub_u16_e32 v38, v246, v0
	v_mov_b32_e32 v0, 6
	v_lshlrev_b32_sdwa v1, v0, v38 dst_sel:DWORD dst_unused:UNUSED_PAD src0_sel:DWORD src1_sel:BYTE_0
	global_load_dwordx4 v[52:55], v1, s[2:3] offset:48
	global_load_dwordx4 v[56:59], v1, s[2:3] offset:32
	global_load_dwordx4 v[60:63], v1, s[2:3] offset:16
	global_load_dwordx4 v[160:163], v1, s[2:3]
	v_add_u16_e32 v1, 0x55, v246
	v_mul_lo_u16_sdwa v2, v1, s6 dst_sel:DWORD dst_unused:UNUSED_PAD src0_sel:BYTE_0 src1_sel:DWORD
	v_lshrrev_b16_e32 v39, 12, v2
	v_mul_lo_u16_e32 v2, 17, v39
	v_sub_u16_e32 v148, v1, v2
	v_lshlrev_b32_sdwa v1, v0, v148 dst_sel:DWORD dst_unused:UNUSED_PAD src0_sel:DWORD src1_sel:BYTE_0
	global_load_dwordx4 v[168:171], v1, s[2:3] offset:16
	global_load_dwordx4 v[176:179], v1, s[2:3]
	global_load_dwordx4 v[164:167], v1, s[2:3] offset:48
	global_load_dwordx4 v[172:175], v1, s[2:3] offset:32
	v_add_u16_e32 v1, 0xaa, v246
	v_mul_lo_u16_sdwa v2, v1, s6 dst_sel:DWORD dst_unused:UNUSED_PAD src0_sel:BYTE_0 src1_sel:DWORD
	v_lshrrev_b16_e32 v149, 12, v2
	v_mul_lo_u16_e32 v2, 17, v149
	v_sub_u16_e32 v150, v1, v2
	v_lshlrev_b32_sdwa v0, v0, v150 dst_sel:DWORD dst_unused:UNUSED_PAD src0_sel:DWORD src1_sel:BYTE_0
	global_load_dwordx4 v[192:195], v0, s[2:3]
	global_load_dwordx4 v[188:191], v0, s[2:3] offset:16
	global_load_dwordx4 v[184:187], v0, s[2:3] offset:32
	;; [unrolled: 1-line block ×3, first 2 shown]
	v_add_u32_e32 v0, 0xff, v246
	s_mov_b32 s6, 0xf0f1
	v_mul_u32_u24_sdwa v1, v0, s6 dst_sel:DWORD dst_unused:UNUSED_PAD src0_sel:WORD_0 src1_sel:DWORD
	v_lshrrev_b32_e32 v1, 20, v1
	v_mul_lo_u16_e32 v1, 17, v1
	v_sub_u16_e32 v242, v0, v1
	v_lshlrev_b16_e32 v0, 2, v242
	v_lshlrev_b32_e32 v0, 4, v0
	global_load_dwordx4 v[40:43], v0, s[2:3]
	global_load_dwordx4 v[48:51], v0, s[2:3] offset:16
	global_load_dwordx4 v[44:47], v0, s[2:3] offset:32
	;; [unrolled: 1-line block ×3, first 2 shown]
	s_mov_b32 s14, 0x134454ff
	s_mov_b32 s15, 0x3fee6f0e
	;; [unrolled: 1-line block ×10, first 2 shown]
	s_load_dwordx4 s[4:7], s[4:5], 0x0
	s_waitcnt lgkmcnt(0)
	s_barrier
	s_waitcnt vmcnt(15)
	v_mul_f64 v[6:7], v[114:115], v[54:55]
	s_waitcnt vmcnt(14)
	v_mul_f64 v[4:5], v[142:143], v[58:59]
	;; [unrolled: 2-line block ×4, first 2 shown]
	v_mul_f64 v[152:153], v[136:137], v[162:163]
	v_fma_f64 v[136:137], v[136:137], v[160:161], -v[0:1]
	v_mul_f64 v[154:155], v[120:121], v[62:63]
	v_fma_f64 v[120:121], v[120:121], v[60:61], -v[2:3]
	v_fmac_f64_e32 v[154:155], v[122:123], v[60:61]
	v_fma_f64 v[122:123], v[140:141], v[56:57], -v[4:5]
	v_mul_f64 v[158:159], v[112:113], v[54:55]
	s_waitcnt vmcnt(10)
	v_mul_f64 v[32:33], v[124:125], v[178:179]
	v_mul_f64 v[10:11], v[98:99], v[170:171]
	v_fma_f64 v[112:113], v[112:113], v[52:53], -v[6:7]
	v_mul_f64 v[156:157], v[140:141], v[58:59]
	v_mul_f64 v[8:9], v[126:127], v[178:179]
	;; [unrolled: 1-line block ×3, first 2 shown]
	s_waitcnt vmcnt(4)
	v_mul_f64 v[0:1], v[74:75], v[182:183]
	v_fma_f64 v[30:31], v[72:73], v[180:181], -v[0:1]
	v_mul_f64 v[144:145], v[128:129], v[174:175]
	v_mul_f64 v[14:15], v[94:95], v[166:167]
	v_fmac_f64_e32 v[152:153], v[138:139], v[160:161]
	v_fmac_f64_e32 v[158:159], v[114:115], v[52:53]
	s_waitcnt vmcnt(3)
	v_mul_f64 v[0:1], v[66:67], v[42:43]
	v_fma_f64 v[0:1], v[64:65], v[40:41], -v[0:1]
	v_mul_f64 v[4:5], v[64:65], v[42:43]
	v_add_f64 v[64:65], v[88:89], v[136:137]
	v_add_f64 v[64:65], v[64:65], v[120:121]
	;; [unrolled: 1-line block ×3, first 2 shown]
	v_fmac_f64_e32 v[32:33], v[126:127], v[176:177]
	v_fma_f64 v[126:127], v[96:97], v[168:169], -v[10:11]
	v_add_f64 v[96:97], v[64:65], v[112:113]
	v_add_f64 v[64:65], v[120:121], v[122:123]
	v_mul_f64 v[12:13], v[130:131], v[174:175]
	v_mul_f64 v[146:147], v[92:93], v[166:167]
	;; [unrolled: 1-line block ×3, first 2 shown]
	v_fmac_f64_e32 v[156:157], v[142:143], v[56:57]
	v_fma_f64 v[124:125], v[124:125], v[176:177], -v[8:9]
	v_fmac_f64_e32 v[144:145], v[130:131], v[172:173]
	v_fma_f64 v[130:131], v[92:93], v[164:165], -v[14:15]
	s_waitcnt vmcnt(2)
	v_mul_f64 v[2:3], v[70:71], v[50:51]
	v_mul_f64 v[8:9], v[68:69], v[50:51]
	v_fma_f64 v[92:93], -0.5, v[64:65], v[88:89]
	v_add_f64 v[64:65], v[152:153], -v[158:159]
	v_mul_f64 v[16:17], v[100:101], v[194:195]
	v_fma_f64 v[24:25], v[100:101], v[192:193], -v[22:23]
	v_fmac_f64_e32 v[4:5], v[66:67], v[40:41]
	v_fma_f64 v[2:3], v[68:69], v[48:49], -v[2:3]
	v_fmac_f64_e32 v[8:9], v[70:71], v[48:49]
	v_fma_f64 v[100:101], s[14:15], v[64:65], v[92:93]
	v_add_f64 v[66:67], v[154:155], -v[156:157]
	v_add_f64 v[68:69], v[136:137], -v[120:121]
	;; [unrolled: 1-line block ×3, first 2 shown]
	v_fmac_f64_e32 v[92:93], s[18:19], v[64:65]
	v_fmac_f64_e32 v[100:101], s[10:11], v[66:67]
	v_add_f64 v[68:69], v[68:69], v[70:71]
	v_fmac_f64_e32 v[92:93], s[20:21], v[66:67]
	v_fmac_f64_e32 v[100:101], s[16:17], v[68:69]
	;; [unrolled: 1-line block ×3, first 2 shown]
	v_add_f64 v[68:69], v[136:137], v[112:113]
	v_mul_f64 v[26:27], v[106:107], v[190:191]
	v_fmac_f64_e32 v[88:89], -0.5, v[68:69]
	v_mul_f64 v[18:19], v[104:105], v[190:191]
	v_fma_f64 v[26:27], v[104:105], v[188:189], -v[26:27]
	v_fma_f64 v[104:105], s[18:19], v[66:67], v[88:89]
	v_fmac_f64_e32 v[88:89], s[14:15], v[66:67]
	v_fmac_f64_e32 v[104:105], s[10:11], v[64:65]
	;; [unrolled: 1-line block ×3, first 2 shown]
	v_add_f64 v[64:65], v[90:91], v[152:153]
	v_add_f64 v[64:65], v[64:65], v[154:155]
	;; [unrolled: 1-line block ×3, first 2 shown]
	v_fmac_f64_e32 v[34:35], v[98:99], v[168:169]
	v_add_f64 v[68:69], v[120:121], -v[136:137]
	v_add_f64 v[70:71], v[122:123], -v[112:113]
	v_add_f64 v[98:99], v[64:65], v[158:159]
	v_add_f64 v[64:65], v[154:155], v[156:157]
	v_fmac_f64_e32 v[146:147], v[94:95], v[164:165]
	v_add_f64 v[68:69], v[68:69], v[70:71]
	v_fma_f64 v[94:95], -0.5, v[64:65], v[90:91]
	v_add_f64 v[64:65], v[136:137], -v[112:113]
	v_fmac_f64_e32 v[16:17], v[102:103], v[192:193]
	v_fmac_f64_e32 v[104:105], s[16:17], v[68:69]
	;; [unrolled: 1-line block ×3, first 2 shown]
	v_fma_f64 v[102:103], s[18:19], v[64:65], v[94:95]
	v_add_f64 v[66:67], v[120:121], -v[122:123]
	v_add_f64 v[68:69], v[152:153], -v[154:155]
	;; [unrolled: 1-line block ×3, first 2 shown]
	v_fmac_f64_e32 v[94:95], s[14:15], v[64:65]
	v_fmac_f64_e32 v[102:103], s[20:21], v[66:67]
	v_add_f64 v[68:69], v[68:69], v[70:71]
	v_fmac_f64_e32 v[94:95], s[10:11], v[66:67]
	v_fmac_f64_e32 v[102:103], s[16:17], v[68:69]
	;; [unrolled: 1-line block ×3, first 2 shown]
	v_add_f64 v[68:69], v[152:153], v[158:159]
	v_fmac_f64_e32 v[90:91], -0.5, v[68:69]
	v_fmac_f64_e32 v[18:19], v[106:107], v[188:189]
	v_fma_f64 v[106:107], s[14:15], v[66:67], v[90:91]
	v_fmac_f64_e32 v[90:91], s[18:19], v[66:67]
	v_fmac_f64_e32 v[106:107], s[20:21], v[64:65]
	;; [unrolled: 1-line block ×3, first 2 shown]
	v_add_f64 v[64:65], v[84:85], v[124:125]
	v_fma_f64 v[128:129], v[128:129], v[172:173], -v[12:13]
	v_add_f64 v[64:65], v[64:65], v[126:127]
	v_add_f64 v[64:65], v[64:65], v[128:129]
	v_mul_f64 v[28:29], v[110:111], v[186:187]
	v_add_f64 v[68:69], v[154:155], -v[152:153]
	v_add_f64 v[70:71], v[156:157], -v[158:159]
	v_add_f64 v[112:113], v[64:65], v[130:131]
	v_add_f64 v[64:65], v[126:127], v[128:129]
	v_mul_f64 v[20:21], v[108:109], v[186:187]
	v_fma_f64 v[28:29], v[108:109], v[184:185], -v[28:29]
	s_waitcnt vmcnt(1)
	v_mul_f64 v[6:7], v[118:119], v[46:47]
	v_add_f64 v[68:69], v[68:69], v[70:71]
	v_fma_f64 v[108:109], -0.5, v[64:65], v[84:85]
	v_add_f64 v[64:65], v[32:33], -v[146:147]
	v_fma_f64 v[6:7], v[116:117], v[44:45], -v[6:7]
	v_mul_f64 v[12:13], v[116:117], v[46:47]
	v_fmac_f64_e32 v[106:107], s[16:17], v[68:69]
	v_fmac_f64_e32 v[90:91], s[16:17], v[68:69]
	v_fma_f64 v[116:117], s[14:15], v[64:65], v[108:109]
	v_add_f64 v[66:67], v[34:35], -v[144:145]
	v_add_f64 v[68:69], v[124:125], -v[126:127]
	;; [unrolled: 1-line block ×3, first 2 shown]
	v_fmac_f64_e32 v[108:109], s[18:19], v[64:65]
	v_fmac_f64_e32 v[116:117], s[10:11], v[66:67]
	v_add_f64 v[68:69], v[68:69], v[70:71]
	v_fmac_f64_e32 v[108:109], s[20:21], v[66:67]
	v_fmac_f64_e32 v[116:117], s[16:17], v[68:69]
	;; [unrolled: 1-line block ×3, first 2 shown]
	v_add_f64 v[68:69], v[124:125], v[130:131]
	v_fmac_f64_e32 v[84:85], -0.5, v[68:69]
	v_fma_f64 v[120:121], s[18:19], v[66:67], v[84:85]
	v_fmac_f64_e32 v[84:85], s[14:15], v[66:67]
	v_fmac_f64_e32 v[120:121], s[10:11], v[64:65]
	;; [unrolled: 1-line block ×3, first 2 shown]
	v_add_f64 v[64:65], v[86:87], v[32:33]
	v_add_f64 v[64:65], v[64:65], v[34:35]
	;; [unrolled: 1-line block ×3, first 2 shown]
	v_add_f64 v[68:69], v[126:127], -v[124:125]
	v_add_f64 v[70:71], v[128:129], -v[130:131]
	v_add_f64 v[114:115], v[64:65], v[146:147]
	v_add_f64 v[64:65], v[34:35], v[144:145]
	v_fmac_f64_e32 v[20:21], v[110:111], v[184:185]
	v_add_f64 v[68:69], v[68:69], v[70:71]
	v_fma_f64 v[110:111], -0.5, v[64:65], v[86:87]
	v_add_f64 v[64:65], v[124:125], -v[130:131]
	v_fmac_f64_e32 v[12:13], v[118:119], v[44:45]
	v_fmac_f64_e32 v[120:121], s[16:17], v[68:69]
	;; [unrolled: 1-line block ×3, first 2 shown]
	v_fma_f64 v[118:119], s[18:19], v[64:65], v[110:111]
	v_add_f64 v[66:67], v[126:127], -v[128:129]
	v_add_f64 v[68:69], v[32:33], -v[34:35]
	v_add_f64 v[70:71], v[146:147], -v[144:145]
	v_fmac_f64_e32 v[110:111], s[14:15], v[64:65]
	v_fmac_f64_e32 v[118:119], s[20:21], v[66:67]
	v_add_f64 v[68:69], v[68:69], v[70:71]
	v_fmac_f64_e32 v[110:111], s[10:11], v[66:67]
	v_mul_f64 v[22:23], v[72:73], v[182:183]
	v_fmac_f64_e32 v[118:119], s[16:17], v[68:69]
	v_fmac_f64_e32 v[110:111], s[16:17], v[68:69]
	v_add_f64 v[68:69], v[32:33], v[146:147]
	v_add_f64 v[32:33], v[34:35], -v[32:33]
	v_add_f64 v[34:35], v[144:145], -v[146:147]
	v_fmac_f64_e32 v[22:23], v[74:75], v[180:181]
	v_fmac_f64_e32 v[86:87], -0.5, v[68:69]
	v_add_f64 v[32:33], v[32:33], v[34:35]
	v_add_f64 v[34:35], v[26:27], v[28:29]
	v_fma_f64 v[122:123], s[14:15], v[66:67], v[86:87]
	v_fmac_f64_e32 v[86:87], s[18:19], v[66:67]
	v_fma_f64 v[124:125], -0.5, v[34:35], v[80:81]
	v_add_f64 v[34:35], v[16:17], -v[22:23]
	v_fmac_f64_e32 v[122:123], s[20:21], v[64:65]
	v_fmac_f64_e32 v[86:87], s[10:11], v[64:65]
	v_fma_f64 v[128:129], s[14:15], v[34:35], v[124:125]
	v_add_f64 v[64:65], v[18:19], -v[20:21]
	v_add_f64 v[66:67], v[24:25], -v[26:27]
	;; [unrolled: 1-line block ×3, first 2 shown]
	v_fmac_f64_e32 v[124:125], s[18:19], v[34:35]
	v_fmac_f64_e32 v[128:129], s[10:11], v[64:65]
	v_add_f64 v[66:67], v[66:67], v[68:69]
	v_fmac_f64_e32 v[124:125], s[20:21], v[64:65]
	v_fmac_f64_e32 v[128:129], s[16:17], v[66:67]
	v_fmac_f64_e32 v[124:125], s[16:17], v[66:67]
	v_add_f64 v[66:67], v[24:25], v[30:31]
	s_waitcnt vmcnt(0)
	v_mul_f64 v[10:11], v[134:135], v[254:255]
	v_fmac_f64_e32 v[122:123], s[16:17], v[32:33]
	v_fmac_f64_e32 v[86:87], s[16:17], v[32:33]
	v_add_f64 v[32:33], v[80:81], v[24:25]
	v_fmac_f64_e32 v[80:81], -0.5, v[66:67]
	v_fma_f64 v[10:11], v[132:133], v[252:253], -v[10:11]
	v_mul_f64 v[14:15], v[132:133], v[254:255]
	v_add_f64 v[32:33], v[32:33], v[26:27]
	v_fma_f64 v[132:133], s[18:19], v[64:65], v[80:81]
	v_fmac_f64_e32 v[80:81], s[14:15], v[64:65]
	v_add_f64 v[64:65], v[18:19], v[20:21]
	v_add_f64 v[32:33], v[32:33], v[28:29]
	v_add_f64 v[66:67], v[26:27], -v[24:25]
	v_fma_f64 v[126:127], -0.5, v[64:65], v[82:83]
	v_add_f64 v[24:25], v[24:25], -v[30:31]
	v_add_f64 v[32:33], v[32:33], v[30:31]
	v_add_f64 v[68:69], v[28:29], -v[30:31]
	v_fma_f64 v[130:131], s[18:19], v[24:25], v[126:127]
	v_add_f64 v[26:27], v[26:27], -v[28:29]
	v_add_f64 v[28:29], v[16:17], -v[18:19]
	;; [unrolled: 1-line block ×3, first 2 shown]
	v_fmac_f64_e32 v[126:127], s[14:15], v[24:25]
	v_fmac_f64_e32 v[130:131], s[20:21], v[26:27]
	v_add_f64 v[28:29], v[28:29], v[30:31]
	v_fmac_f64_e32 v[126:127], s[10:11], v[26:27]
	v_fmac_f64_e32 v[130:131], s[16:17], v[28:29]
	;; [unrolled: 1-line block ×3, first 2 shown]
	v_add_f64 v[28:29], v[16:17], v[22:23]
	v_fmac_f64_e32 v[132:133], s[10:11], v[34:35]
	v_fmac_f64_e32 v[80:81], s[20:21], v[34:35]
	v_add_f64 v[34:35], v[82:83], v[16:17]
	v_fmac_f64_e32 v[82:83], -0.5, v[28:29]
	v_fmac_f64_e32 v[14:15], v[134:135], v[252:253]
	v_add_f64 v[34:35], v[34:35], v[18:19]
	v_fma_f64 v[134:135], s[14:15], v[26:27], v[82:83]
	v_add_f64 v[16:17], v[18:19], -v[16:17]
	v_add_f64 v[18:19], v[20:21], -v[22:23]
	v_fmac_f64_e32 v[82:83], s[18:19], v[26:27]
	v_fmac_f64_e32 v[134:135], s[20:21], v[24:25]
	v_add_f64 v[16:17], v[16:17], v[18:19]
	v_fmac_f64_e32 v[82:83], s[10:11], v[24:25]
	v_fmac_f64_e32 v[134:135], s[16:17], v[16:17]
	;; [unrolled: 1-line block ×3, first 2 shown]
	v_add_f64 v[16:17], v[2:3], v[6:7]
	v_add_f64 v[34:35], v[34:35], v[20:21]
	v_fma_f64 v[64:65], -0.5, v[16:17], v[76:77]
	v_add_f64 v[16:17], v[4:5], -v[14:15]
	v_add_f64 v[34:35], v[34:35], v[22:23]
	v_fma_f64 v[136:137], s[14:15], v[16:17], v[64:65]
	v_add_f64 v[18:19], v[8:9], -v[12:13]
	v_add_f64 v[20:21], v[0:1], -v[2:3]
	;; [unrolled: 1-line block ×3, first 2 shown]
	v_fmac_f64_e32 v[64:65], s[18:19], v[16:17]
	v_fmac_f64_e32 v[136:137], s[10:11], v[18:19]
	v_add_f64 v[20:21], v[20:21], v[22:23]
	v_fmac_f64_e32 v[64:65], s[20:21], v[18:19]
	v_fmac_f64_e32 v[136:137], s[16:17], v[20:21]
	;; [unrolled: 1-line block ×3, first 2 shown]
	v_add_f64 v[20:21], v[0:1], v[10:11]
	v_fma_f64 v[72:73], -0.5, v[20:21], v[76:77]
	v_add_f64 v[66:67], v[66:67], v[68:69]
	v_fma_f64 v[68:69], s[18:19], v[18:19], v[72:73]
	v_fmac_f64_e32 v[72:73], s[14:15], v[18:19]
	v_fmac_f64_e32 v[68:69], s[10:11], v[16:17]
	v_add_f64 v[20:21], v[2:3], -v[0:1]
	v_add_f64 v[22:23], v[6:7], -v[10:11]
	v_fmac_f64_e32 v[72:73], s[20:21], v[16:17]
	v_add_f64 v[16:17], v[8:9], v[12:13]
	v_fmac_f64_e32 v[132:133], s[16:17], v[66:67]
	v_fmac_f64_e32 v[80:81], s[16:17], v[66:67]
	v_add_f64 v[20:21], v[20:21], v[22:23]
	v_fma_f64 v[66:67], -0.5, v[16:17], v[78:79]
	v_add_f64 v[16:17], v[0:1], -v[10:11]
	v_fmac_f64_e32 v[68:69], s[16:17], v[20:21]
	v_fmac_f64_e32 v[72:73], s[16:17], v[20:21]
	v_fma_f64 v[138:139], s[18:19], v[16:17], v[66:67]
	v_add_f64 v[18:19], v[2:3], -v[6:7]
	v_add_f64 v[20:21], v[4:5], -v[8:9]
	;; [unrolled: 1-line block ×3, first 2 shown]
	v_fmac_f64_e32 v[66:67], s[14:15], v[16:17]
	v_fmac_f64_e32 v[138:139], s[20:21], v[18:19]
	v_add_f64 v[20:21], v[20:21], v[22:23]
	v_fmac_f64_e32 v[66:67], s[10:11], v[18:19]
	v_fmac_f64_e32 v[138:139], s[16:17], v[20:21]
	v_fmac_f64_e32 v[66:67], s[16:17], v[20:21]
	v_add_f64 v[20:21], v[4:5], v[14:15]
	v_fma_f64 v[74:75], -0.5, v[20:21], v[78:79]
	v_fma_f64 v[70:71], s[14:15], v[18:19], v[74:75]
	v_fmac_f64_e32 v[74:75], s[18:19], v[18:19]
	v_fmac_f64_e32 v[70:71], s[20:21], v[16:17]
	;; [unrolled: 1-line block ×3, first 2 shown]
	v_mul_u32_u24_e32 v16, 0x55, v37
	v_add_u32_sdwa v16, v16, v38 dst_sel:DWORD dst_unused:UNUSED_PAD src0_sel:DWORD src1_sel:BYTE_0
	v_add_lshl_u32 v243, v244, v16, 4
	v_mul_u32_u24_e32 v16, 0x55, v39
	v_add_u32_sdwa v16, v16, v148 dst_sel:DWORD dst_unused:UNUSED_PAD src0_sel:DWORD src1_sel:BYTE_0
	v_add_f64 v[20:21], v[8:9], -v[4:5]
	v_add_f64 v[22:23], v[12:13], -v[14:15]
	v_add_lshl_u32 v37, v244, v16, 4
	v_mul_u32_u24_e32 v16, 0x55, v149
	v_accvgpr_write_b32 a32, v160
	v_accvgpr_write_b32 a48, v176
	;; [unrolled: 1-line block ×12, first 2 shown]
	v_add_f64 v[20:21], v[20:21], v[22:23]
	v_add_u32_sdwa v16, v16, v150 dst_sel:DWORD dst_unused:UNUSED_PAD src0_sel:DWORD src1_sel:BYTE_0
	v_accvgpr_write_b32 a33, v161
	v_accvgpr_write_b32 a34, v162
	;; [unrolled: 1-line block ×36, first 2 shown]
	v_fmac_f64_e32 v[70:71], s[16:17], v[20:21]
	v_fmac_f64_e32 v[74:75], s[16:17], v[20:21]
	v_add_lshl_u32 v39, v244, v16, 4
	ds_write_b128 v243, v[96:99]
	ds_write_b128 v243, v[100:103] offset:272
	ds_write_b128 v243, v[104:107] offset:544
	ds_write_b128 v243, v[88:91] offset:816
	ds_write_b128 v243, v[92:95] offset:1088
	ds_write_b128 v37, v[112:115]
	ds_write_b128 v37, v[116:119] offset:272
	ds_write_b128 v37, v[120:123] offset:544
	ds_write_b128 v37, v[84:87] offset:816
	ds_write_b128 v37, v[108:111] offset:1088
	;; [unrolled: 5-line block ×3, first 2 shown]
	s_and_saveexec_b64 s[10:11], s[0:1]
	s_cbranch_execz .LBB0_11
; %bb.10:
	v_add_f64 v[4:5], v[78:79], v[4:5]
	v_add_f64 v[0:1], v[76:77], v[0:1]
	;; [unrolled: 1-line block ×8, first 2 shown]
	v_add_lshl_u32 v0, v244, v242, 4
	ds_write_b128 v0, v[2:5] offset:20400
	ds_write_b128 v0, v[136:139] offset:20672
	ds_write_b128 v0, v[68:71] offset:20944
	ds_write_b128 v0, v[72:75] offset:21216
	ds_write_b128 v0, v[64:67] offset:21488
.LBB0_11:
	s_or_b64 exec, exec, s[10:11]
	s_movk_i32 s10, 0xf0
	v_mov_b64_e32 v[0:1], s[2:3]
	v_mad_u64_u32 v[32:33], s[2:3], v246, s10, v[0:1]
	s_waitcnt lgkmcnt(0)
	s_barrier
	ds_read_b128 v[140:143], v36
	ds_read_b128 v[2:5], v36 offset:1360
	ds_read_b128 v[10:13], v36 offset:2720
	;; [unrolled: 1-line block ×15, first 2 shown]
	global_load_dwordx4 v[22:25], v[32:33], off offset:1136
	global_load_dwordx4 v[26:29], v[32:33], off offset:1120
	;; [unrolled: 1-line block ×8, first 2 shown]
	s_mov_b32 s2, 0x667f3bcd
	s_mov_b32 s3, 0xbfe6a09e
	;; [unrolled: 1-line block ×12, first 2 shown]
	v_lshl_add_u32 v38, v246, 4, v245
	s_waitcnt vmcnt(7)
	v_accvgpr_write_b32 a71, v25
	s_waitcnt vmcnt(6) lgkmcnt(12)
	v_mul_f64 v[6:7], v[14:15], v[28:29]
	v_accvgpr_write_b32 a117, v29
	s_waitcnt vmcnt(4)
	v_mul_f64 v[0:1], v[4:5], v[102:103]
	v_fma_f64 v[0:1], v[2:3], v[100:101], -v[0:1]
	v_mul_f64 v[2:3], v[2:3], v[102:103]
	v_fmac_f64_e32 v[2:3], v[4:5], v[100:101]
	v_mul_f64 v[4:5], v[12:13], v[86:87]
	v_fma_f64 v[8:9], v[10:11], v[84:85], -v[4:5]
	v_mul_f64 v[4:5], v[16:17], v[28:29]
	v_mul_f64 v[10:11], v[10:11], v[86:87]
	v_fma_f64 v[4:5], v[14:15], v[26:27], -v[4:5]
	s_waitcnt lgkmcnt(11)
	v_mul_f64 v[14:15], v[18:19], v[24:25]
	v_fmac_f64_e32 v[10:11], v[12:13], v[84:85]
	v_mul_f64 v[12:13], v[20:21], v[24:25]
	v_fmac_f64_e32 v[14:15], v[20:21], v[22:23]
	s_waitcnt vmcnt(1) lgkmcnt(9)
	v_mul_f64 v[20:21], v[114:115], v[98:99]
	v_accvgpr_write_b32 a116, v28
	v_accvgpr_write_b32 a115, v27
	v_accvgpr_write_b32 a114, v26
	v_fmac_f64_e32 v[6:7], v[16:17], v[26:27]
	v_fma_f64 v[12:13], v[18:19], v[22:23], -v[12:13]
	v_accvgpr_write_b32 a70, v24
	v_accvgpr_write_b32 a69, v23
	;; [unrolled: 1-line block ×3, first 2 shown]
	s_waitcnt vmcnt(0)
	v_mul_f64 v[16:17], v[130:131], v[118:119]
	v_mul_f64 v[18:19], v[128:129], v[118:119]
	v_fma_f64 v[24:25], v[112:113], v[96:97], -v[20:21]
	v_mul_f64 v[26:27], v[112:113], v[98:99]
	s_waitcnt lgkmcnt(8)
	v_mul_f64 v[20:21], v[110:111], v[94:95]
	v_mul_f64 v[22:23], v[108:109], v[94:95]
	s_waitcnt lgkmcnt(7)
	v_mul_f64 v[28:29], v[106:107], v[90:91]
	v_mul_f64 v[30:31], v[104:105], v[90:91]
	v_fma_f64 v[16:17], v[128:129], v[116:117], -v[16:17]
	v_fmac_f64_e32 v[18:19], v[130:131], v[116:117]
	v_fmac_f64_e32 v[26:27], v[114:115], v[96:97]
	v_fma_f64 v[20:21], v[108:109], v[92:93], -v[20:21]
	v_fmac_f64_e32 v[22:23], v[110:111], v[92:93]
	v_fma_f64 v[28:29], v[104:105], v[88:89], -v[28:29]
	v_fmac_f64_e32 v[30:31], v[106:107], v[88:89]
	global_load_dwordx4 v[104:107], v[32:33], off offset:1264
	global_load_dwordx4 v[108:111], v[32:33], off offset:1248
	;; [unrolled: 1-line block ×4, first 2 shown]
	v_add_f64 v[28:29], v[140:141], -v[28:29]
	v_add_f64 v[30:31], v[142:143], -v[30:31]
	v_fma_f64 v[140:141], v[140:141], 2.0, -v[28:29]
	v_fma_f64 v[142:143], v[142:143], 2.0, -v[30:31]
	s_waitcnt vmcnt(3) lgkmcnt(3)
	v_mul_f64 v[168:169], v[120:121], v[106:107]
	s_waitcnt vmcnt(2)
	v_mul_f64 v[160:161], v[124:125], v[110:111]
	s_waitcnt vmcnt(1)
	v_mul_f64 v[164:165], v[132:133], v[114:115]
	s_waitcnt vmcnt(0)
	v_mul_f64 v[34:35], v[158:159], v[130:131]
	v_fma_f64 v[34:35], v[156:157], v[128:129], -v[34:35]
	v_mul_f64 v[156:157], v[156:157], v[130:131]
	v_fmac_f64_e32 v[156:157], v[158:159], v[128:129]
	v_mul_f64 v[158:159], v[134:135], v[114:115]
	v_fma_f64 v[162:163], v[132:133], v[112:113], -v[158:159]
	v_mul_f64 v[132:133], v[126:127], v[110:111]
	v_fma_f64 v[158:159], v[124:125], v[108:109], -v[132:133]
	v_mul_f64 v[124:125], v[122:123], v[106:107]
	v_fmac_f64_e32 v[164:165], v[134:135], v[112:113]
	v_fmac_f64_e32 v[160:161], v[126:127], v[108:109]
	v_fma_f64 v[166:167], v[120:121], v[104:105], -v[124:125]
	v_fmac_f64_e32 v[168:169], v[122:123], v[104:105]
	global_load_dwordx4 v[120:123], v[32:33], off offset:1312
	global_load_dwordx4 v[124:127], v[32:33], off offset:1296
	;; [unrolled: 1-line block ×3, first 2 shown]
	v_add_f64 v[162:163], v[8:9], -v[162:163]
	v_add_f64 v[164:165], v[10:11], -v[164:165]
	;; [unrolled: 1-line block ×6, first 2 shown]
	v_fma_f64 v[8:9], v[8:9], 2.0, -v[162:163]
	v_fma_f64 v[10:11], v[10:11], 2.0, -v[164:165]
	;; [unrolled: 1-line block ×6, first 2 shown]
	s_waitcnt vmcnt(0) lgkmcnt(2)
	v_mul_f64 v[32:33], v[154:155], v[134:135]
	v_fma_f64 v[32:33], v[152:153], v[132:133], -v[32:33]
	v_mul_f64 v[152:153], v[152:153], v[134:135]
	v_fmac_f64_e32 v[152:153], v[154:155], v[132:133]
	s_waitcnt lgkmcnt(1)
	v_mul_f64 v[154:155], v[150:151], v[126:127]
	v_fma_f64 v[154:155], v[148:149], v[124:125], -v[154:155]
	v_mul_f64 v[148:149], v[148:149], v[126:127]
	v_fmac_f64_e32 v[148:149], v[150:151], v[124:125]
	s_waitcnt lgkmcnt(0)
	v_mul_f64 v[150:151], v[146:147], v[122:123]
	v_fma_f64 v[150:151], v[144:145], v[120:121], -v[150:151]
	v_mul_f64 v[144:145], v[144:145], v[122:123]
	v_fmac_f64_e32 v[144:145], v[146:147], v[120:121]
	v_add_f64 v[146:147], v[12:13], -v[166:167]
	v_add_f64 v[166:167], v[14:15], -v[168:169]
	v_add_f64 v[154:155], v[24:25], -v[154:155]
	v_add_f64 v[148:149], v[26:27], -v[148:149]
	v_add_f64 v[32:33], v[16:17], -v[32:33]
	v_add_f64 v[152:153], v[18:19], -v[152:153]
	v_add_f64 v[150:151], v[20:21], -v[150:151]
	v_add_f64 v[144:145], v[22:23], -v[144:145]
	v_fma_f64 v[12:13], v[12:13], 2.0, -v[146:147]
	v_fma_f64 v[14:15], v[14:15], 2.0, -v[166:167]
	v_fma_f64 v[24:25], v[24:25], 2.0, -v[154:155]
	v_fma_f64 v[26:27], v[26:27], 2.0, -v[148:149]
	v_fma_f64 v[16:17], v[16:17], 2.0, -v[32:33]
	v_fma_f64 v[18:19], v[18:19], 2.0, -v[152:153]
	v_fma_f64 v[20:21], v[20:21], 2.0, -v[150:151]
	v_fma_f64 v[22:23], v[22:23], 2.0, -v[144:145]
	v_add_f64 v[166:167], v[28:29], -v[166:167]
	v_add_f64 v[146:147], v[30:31], v[146:147]
	v_add_f64 v[148:149], v[162:163], -v[148:149]
	v_add_f64 v[154:155], v[164:165], v[154:155]
	;; [unrolled: 2-line block ×4, first 2 shown]
	v_fma_f64 v[28:29], v[28:29], 2.0, -v[166:167]
	v_fma_f64 v[30:31], v[30:31], 2.0, -v[146:147]
	;; [unrolled: 1-line block ×8, first 2 shown]
	v_add_f64 v[12:13], v[140:141], -v[12:13]
	v_add_f64 v[14:15], v[142:143], -v[14:15]
	;; [unrolled: 1-line block ×8, first 2 shown]
	v_fma_f64 v[172:173], s[2:3], v[162:163], v[28:29]
	v_fma_f64 v[174:175], s[2:3], v[164:165], v[30:31]
	;; [unrolled: 1-line block ×8, first 2 shown]
	v_fma_f64 v[140:141], v[140:141], 2.0, -v[12:13]
	v_fma_f64 v[142:143], v[142:143], 2.0, -v[14:15]
	;; [unrolled: 1-line block ×8, first 2 shown]
	v_fmac_f64_e32 v[172:173], s[2:3], v[164:165]
	v_fmac_f64_e32 v[174:175], s[10:11], v[162:163]
	v_add_f64 v[26:27], v[12:13], -v[26:27]
	v_add_f64 v[24:25], v[14:15], v[24:25]
	v_fmac_f64_e32 v[188:189], s[2:3], v[154:155]
	v_fmac_f64_e32 v[190:191], s[10:11], v[148:149]
	;; [unrolled: 1-line block ×4, first 2 shown]
	v_add_f64 v[22:23], v[16:17], -v[22:23]
	v_add_f64 v[20:21], v[18:19], v[20:21]
	v_fmac_f64_e32 v[204:205], s[2:3], v[150:151]
	v_fmac_f64_e32 v[206:207], s[10:11], v[144:145]
	v_add_f64 v[8:9], v[140:141], -v[8:9]
	v_add_f64 v[10:11], v[142:143], -v[10:11]
	v_fma_f64 v[28:29], v[28:29], 2.0, -v[172:173]
	v_fma_f64 v[30:31], v[30:31], 2.0, -v[174:175]
	;; [unrolled: 1-line block ×6, first 2 shown]
	v_add_f64 v[4:5], v[0:1], -v[4:5]
	v_add_f64 v[6:7], v[2:3], -v[6:7]
	v_fma_f64 v[34:35], v[34:35], 2.0, -v[180:181]
	v_fma_f64 v[146:147], v[156:157], 2.0, -v[182:183]
	;; [unrolled: 1-line block ×10, first 2 shown]
	v_fma_f64 v[160:161], s[16:17], v[34:35], v[28:29]
	v_fma_f64 v[162:163], s[16:17], v[146:147], v[30:31]
	;; [unrolled: 1-line block ×12, first 2 shown]
	v_add_f64 v[152:153], v[140:141], -v[0:1]
	v_add_f64 v[154:155], v[142:143], -v[2:3]
	v_fmac_f64_e32 v[160:161], s[14:15], v[146:147]
	v_fmac_f64_e32 v[162:163], s[18:19], v[34:35]
	;; [unrolled: 1-line block ×6, first 2 shown]
	v_add_f64 v[184:185], v[8:9], -v[6:7]
	v_add_f64 v[186:187], v[10:11], v[4:5]
	v_fmac_f64_e32 v[192:193], s[16:17], v[182:183]
	v_fmac_f64_e32 v[194:195], s[20:21], v[180:181]
	;; [unrolled: 1-line block ×6, first 2 shown]
	v_fma_f64 v[140:141], v[140:141], 2.0, -v[152:153]
	v_fma_f64 v[142:143], v[142:143], 2.0, -v[154:155]
	;; [unrolled: 1-line block ×16, first 2 shown]
	ds_write_b128 v38, v[140:143]
	ds_write_b128 v38, v[144:147] offset:1360
	ds_write_b128 v38, v[148:151] offset:2720
	;; [unrolled: 1-line block ×15, first 2 shown]
	s_waitcnt lgkmcnt(0)
	s_barrier
	s_and_saveexec_b64 s[10:11], vcc
	s_cbranch_execz .LBB0_13
; %bb.12:
	s_add_u32 s14, s8, 0x5500
	s_addc_u32 s15, s9, 0
	global_load_dwordx4 v[6:9], v248, s[14:15]
	ds_read_b128 v[2:5], v38
	ds_read_b128 v[204:207], v38 offset:20480
	v_mov_b32_e32 v249, 0
	v_lshl_add_u64 v[0:1], s[14:15], 0, v[248:249]
	s_movk_i32 s2, 0x1000
	v_add_co_u32_e64 v14, s[2:3], s2, v0
	s_waitcnt vmcnt(0) lgkmcnt(1)
	v_mul_f64 v[10:11], v[4:5], v[8:9]
	v_mul_f64 v[12:13], v[2:3], v[8:9]
	v_fma_f64 v[10:11], v[2:3], v[6:7], -v[10:11]
	v_fmac_f64_e32 v[12:13], v[4:5], v[6:7]
	global_load_dwordx4 v[6:9], v248, s[14:15] offset:1280
	ds_read_b128 v[2:5], v38 offset:1280
	ds_write_b128 v38, v[10:13]
	v_addc_co_u32_e64 v15, s[2:3], 0, v1, s[2:3]
	s_movk_i32 s2, 0x2000
	s_waitcnt vmcnt(0) lgkmcnt(1)
	v_mul_f64 v[10:11], v[4:5], v[8:9]
	v_mul_f64 v[12:13], v[2:3], v[8:9]
	v_fma_f64 v[10:11], v[2:3], v[6:7], -v[10:11]
	v_fmac_f64_e32 v[12:13], v[4:5], v[6:7]
	global_load_dwordx4 v[6:9], v248, s[14:15] offset:2560
	ds_read_b128 v[2:5], v38 offset:2560
	ds_write_b128 v38, v[10:13] offset:1280
	s_waitcnt vmcnt(0) lgkmcnt(1)
	v_mul_f64 v[10:11], v[4:5], v[8:9]
	v_mul_f64 v[12:13], v[2:3], v[8:9]
	v_fma_f64 v[10:11], v[2:3], v[6:7], -v[10:11]
	v_fmac_f64_e32 v[12:13], v[4:5], v[6:7]
	global_load_dwordx4 v[6:9], v248, s[14:15] offset:3840
	ds_read_b128 v[2:5], v38 offset:3840
	ds_write_b128 v38, v[10:13] offset:2560
	s_waitcnt vmcnt(0) lgkmcnt(1)
	v_mul_f64 v[10:11], v[4:5], v[8:9]
	v_mul_f64 v[12:13], v[2:3], v[8:9]
	v_fma_f64 v[10:11], v[2:3], v[6:7], -v[10:11]
	v_fmac_f64_e32 v[12:13], v[4:5], v[6:7]
	global_load_dwordx4 v[6:9], v[14:15], off offset:1024
	ds_read_b128 v[2:5], v38 offset:5120
	ds_write_b128 v38, v[10:13] offset:3840
	s_waitcnt vmcnt(0) lgkmcnt(1)
	v_mul_f64 v[10:11], v[4:5], v[8:9]
	v_mul_f64 v[12:13], v[2:3], v[8:9]
	v_fma_f64 v[10:11], v[2:3], v[6:7], -v[10:11]
	v_fmac_f64_e32 v[12:13], v[4:5], v[6:7]
	global_load_dwordx4 v[6:9], v[14:15], off offset:2304
	;; [unrolled: 8-line block ×3, first 2 shown]
	ds_read_b128 v[2:5], v38 offset:7680
	v_add_co_u32_e64 v14, s[2:3], s2, v0
	ds_write_b128 v38, v[10:13] offset:6400
	s_nop 0
	v_addc_co_u32_e64 v15, s[2:3], 0, v1, s[2:3]
	s_movk_i32 s2, 0x3000
	s_waitcnt vmcnt(0) lgkmcnt(1)
	v_mul_f64 v[10:11], v[4:5], v[8:9]
	v_mul_f64 v[12:13], v[2:3], v[8:9]
	v_fma_f64 v[10:11], v[2:3], v[6:7], -v[10:11]
	v_fmac_f64_e32 v[12:13], v[4:5], v[6:7]
	global_load_dwordx4 v[6:9], v[14:15], off offset:768
	ds_read_b128 v[2:5], v38 offset:8960
	ds_write_b128 v38, v[10:13] offset:7680
	s_waitcnt vmcnt(0) lgkmcnt(1)
	v_mul_f64 v[10:11], v[4:5], v[8:9]
	v_mul_f64 v[12:13], v[2:3], v[8:9]
	v_fma_f64 v[10:11], v[2:3], v[6:7], -v[10:11]
	v_fmac_f64_e32 v[12:13], v[4:5], v[6:7]
	v_or_b32_e32 v6, 0x2800, v248
	global_load_dwordx4 v[6:9], v6, s[14:15]
	ds_read_b128 v[2:5], v38 offset:10240
	ds_write_b128 v38, v[10:13] offset:8960
	s_waitcnt vmcnt(0) lgkmcnt(1)
	v_mul_f64 v[10:11], v[4:5], v[8:9]
	v_mul_f64 v[12:13], v[2:3], v[8:9]
	v_fma_f64 v[10:11], v[2:3], v[6:7], -v[10:11]
	v_fmac_f64_e32 v[12:13], v[4:5], v[6:7]
	global_load_dwordx4 v[6:9], v[14:15], off offset:3328
	ds_read_b128 v[2:5], v38 offset:11520
	v_add_co_u32_e64 v14, s[2:3], s2, v0
	ds_write_b128 v38, v[10:13] offset:10240
	s_nop 0
	v_addc_co_u32_e64 v15, s[2:3], 0, v1, s[2:3]
	s_movk_i32 s2, 0x4000
	s_waitcnt vmcnt(0) lgkmcnt(1)
	v_mul_f64 v[10:11], v[4:5], v[8:9]
	v_mul_f64 v[12:13], v[2:3], v[8:9]
	v_fma_f64 v[10:11], v[2:3], v[6:7], -v[10:11]
	v_fmac_f64_e32 v[12:13], v[4:5], v[6:7]
	global_load_dwordx4 v[6:9], v[14:15], off offset:512
	ds_read_b128 v[2:5], v38 offset:12800
	ds_write_b128 v38, v[10:13] offset:11520
	s_waitcnt vmcnt(0) lgkmcnt(1)
	v_mul_f64 v[10:11], v[4:5], v[8:9]
	v_mul_f64 v[12:13], v[2:3], v[8:9]
	v_fma_f64 v[10:11], v[2:3], v[6:7], -v[10:11]
	v_fmac_f64_e32 v[12:13], v[4:5], v[6:7]
	global_load_dwordx4 v[6:9], v[14:15], off offset:1792
	ds_read_b128 v[2:5], v38 offset:14080
	ds_write_b128 v38, v[10:13] offset:12800
	;; [unrolled: 8-line block ×3, first 2 shown]
	s_waitcnt vmcnt(0) lgkmcnt(1)
	v_mul_f64 v[10:11], v[4:5], v[8:9]
	v_mul_f64 v[12:13], v[2:3], v[8:9]
	v_fma_f64 v[10:11], v[2:3], v[6:7], -v[10:11]
	v_fmac_f64_e32 v[12:13], v[4:5], v[6:7]
	ds_write_b128 v38, v[10:13] offset:15360
	v_add_co_u32_e64 v12, s[2:3], s2, v0
	ds_read_b128 v[2:5], v38 offset:16640
	s_nop 0
	v_addc_co_u32_e64 v13, s[2:3], 0, v1, s[2:3]
	global_load_dwordx4 v[6:9], v[12:13], off offset:256
	s_waitcnt vmcnt(0) lgkmcnt(0)
	v_mul_f64 v[0:1], v[4:5], v[8:9]
	v_fma_f64 v[0:1], v[2:3], v[6:7], -v[0:1]
	v_mul_f64 v[2:3], v[2:3], v[8:9]
	v_fmac_f64_e32 v[2:3], v[4:5], v[6:7]
	global_load_dwordx4 v[4:7], v[12:13], off offset:1536
	ds_write_b128 v38, v[0:3] offset:16640
	ds_read_b128 v[0:3], v38 offset:17920
	s_waitcnt vmcnt(0) lgkmcnt(0)
	v_mul_f64 v[8:9], v[2:3], v[6:7]
	v_mul_f64 v[10:11], v[0:1], v[6:7]
	v_fma_f64 v[8:9], v[0:1], v[4:5], -v[8:9]
	v_fmac_f64_e32 v[10:11], v[2:3], v[4:5]
	global_load_dwordx4 v[4:7], v[12:13], off offset:2816
	ds_read_b128 v[0:3], v38 offset:19200
	ds_write_b128 v38, v[8:11] offset:17920
	s_waitcnt vmcnt(0) lgkmcnt(1)
	v_mul_f64 v[8:9], v[2:3], v[6:7]
	v_fma_f64 v[8:9], v[0:1], v[4:5], -v[8:9]
	v_mul_f64 v[10:11], v[0:1], v[6:7]
	v_or_b32_e32 v0, 0x5000, v248
	global_load_dwordx4 v[208:211], v0, s[14:15]
	v_fmac_f64_e32 v[10:11], v[2:3], v[4:5]
	ds_write_b128 v38, v[8:11] offset:19200
	s_waitcnt vmcnt(0)
	v_mul_f64 v[0:1], v[206:207], v[210:211]
	v_mul_f64 v[2:3], v[204:205], v[210:211]
	v_fma_f64 v[0:1], v[204:205], v[208:209], -v[0:1]
	v_fmac_f64_e32 v[2:3], v[206:207], v[208:209]
	ds_write_b128 v38, v[0:3] offset:20480
.LBB0_13:
	s_or_b64 exec, exec, s[10:11]
	v_accvgpr_write_b32 a1, v245
	s_waitcnt lgkmcnt(0)
	s_barrier
	s_and_saveexec_b64 s[2:3], vcc
	s_cbranch_execz .LBB0_15
; %bb.14:
	ds_read_b128 v[140:143], v38
	ds_read_b128 v[144:147], v38 offset:1280
	ds_read_b128 v[148:151], v38 offset:2560
	;; [unrolled: 1-line block ×16, first 2 shown]
.LBB0_15:
	s_or_b64 exec, exec, s[2:3]
	s_mov_b32 s2, 0x370991
	s_waitcnt lgkmcnt(0)
	v_add_f64 v[226:227], v[138:139], v[146:147]
	s_mov_b32 s3, 0x3fedd6d0
	s_mov_b32 s30, 0x5d8e7cdc
	;; [unrolled: 1-line block ×3, first 2 shown]
	v_add_f64 v[222:223], v[144:145], -v[136:137]
	v_add_f64 v[2:3], v[146:147], -v[138:139]
	s_mov_b32 s31, 0xbfd71e95
	v_mul_f64 v[42:43], v[226:227], s[2:3]
	s_mov_b32 s14, 0x75d4884
	s_mov_b32 s21, 0xbfe58eea
	v_add_f64 v[218:219], v[136:137], v[144:145]
	v_fma_f64 v[4:5], s[30:31], v[222:223], v[42:43]
	s_mov_b32 s15, 0x3fe7a5f6
	v_mul_f64 v[48:49], v[2:3], s[20:21]
	v_add_f64 v[6:7], v[142:143], v[4:5]
	v_mul_f64 v[10:11], v[226:227], s[14:15]
	v_fma_f64 v[4:5], v[218:219], s[14:15], -v[48:49]
	v_mul_f64 v[40:41], v[2:3], s[30:31]
	v_add_f64 v[8:9], v[140:141], v[4:5]
	v_accvgpr_write_b32 a103, v11
	v_fma_f64 v[4:5], s[20:21], v[222:223], v[10:11]
	v_add_f64 v[234:235], v[150:151], -v[202:203]
	v_fma_f64 v[0:1], v[218:219], s[2:3], -v[40:41]
	v_accvgpr_write_b32 a102, v10
	v_add_f64 v[10:11], v[142:143], v[4:5]
	v_add_f64 v[224:225], v[200:201], v[148:149]
	;; [unrolled: 1-line block ×3, first 2 shown]
	v_mul_f64 v[44:45], v[234:235], s[20:21]
	v_add_f64 v[0:1], v[140:141], v[0:1]
	v_add_f64 v[216:217], v[148:149], -v[200:201]
	v_mul_f64 v[46:47], v[4:5], s[14:15]
	v_fma_f64 v[12:13], v[224:225], s[14:15], -v[44:45]
	s_mov_b32 s22, 0xeb564b22
	v_add_f64 v[0:1], v[12:13], v[0:1]
	v_fma_f64 v[12:13], s[20:21], v[216:217], v[46:47]
	s_mov_b32 s23, 0xbfefdd0d
	v_add_f64 v[6:7], v[12:13], v[6:7]
	s_mov_b32 s18, 0x3259b75e
	v_mul_f64 v[12:13], v[234:235], s[22:23]
	s_mov_b32 s19, 0x3fb79ee6
	v_accvgpr_write_b32 a105, v13
	s_mov_b32 s34, 0x7c9e640b
	v_mul_f64 v[14:15], v[4:5], s[18:19]
	v_accvgpr_write_b32 a104, v12
	v_fma_f64 v[12:13], v[224:225], s[18:19], -v[12:13]
	v_add_f64 v[238:239], v[158:159], -v[198:199]
	s_mov_b32 s16, 0x2b2883cd
	s_mov_b32 s35, 0xbfeca52d
	v_add_f64 v[8:9], v[12:13], v[8:9]
	v_fma_f64 v[12:13], s[22:23], v[216:217], v[14:15]
	v_add_f64 v[220:221], v[196:197], v[156:157]
	v_add_f64 v[232:233], v[198:199], v[158:159]
	s_mov_b32 s17, 0x3fdc86fa
	v_mul_f64 v[50:51], v[238:239], s[34:35]
	v_add_f64 v[10:11], v[12:13], v[10:11]
	v_add_f64 v[228:229], v[156:157], -v[196:197]
	v_mul_f64 v[244:245], v[232:233], s[16:17]
	v_fma_f64 v[12:13], v[220:221], s[16:17], -v[50:51]
	s_mov_b32 s24, 0x6c9a05f6
	v_add_f64 v[12:13], v[12:13], v[0:1]
	v_fma_f64 v[0:1], s[34:35], v[228:229], v[244:245]
	s_mov_b32 s28, 0x6ed5f1bb
	s_mov_b32 s25, 0xbfe9895b
	v_accvgpr_write_b32 a77, v15
	v_add_f64 v[6:7], v[0:1], v[6:7]
	s_mov_b32 s29, 0xbfe348c8
	v_mul_f64 v[0:1], v[238:239], s[24:25]
	v_accvgpr_write_b32 a76, v14
	v_mul_f64 v[14:15], v[232:233], s[28:29]
	v_accvgpr_write_b32 a81, v1
	v_accvgpr_write_b32 a80, v0
	v_fma_f64 v[0:1], v[220:221], s[28:29], -v[0:1]
	v_accvgpr_write_b32 a85, v15
	v_add_f64 v[18:19], v[166:167], -v[194:195]
	v_add_f64 v[8:9], v[0:1], v[8:9]
	v_accvgpr_write_b32 a84, v14
	v_fma_f64 v[0:1], s[24:25], v[228:229], v[14:15]
	v_mul_f64 v[14:15], v[18:19], s[22:23]
	v_add_f64 v[230:231], v[192:193], v[164:165]
	v_add_f64 v[16:17], v[194:195], v[166:167]
	v_accvgpr_write_b32 a75, v15
	v_add_f64 v[10:11], v[0:1], v[10:11]
	v_add_f64 v[0:1], v[164:165], -v[192:193]
	v_mul_f64 v[20:21], v[16:17], s[18:19]
	v_accvgpr_write_b32 a74, v14
	v_fma_f64 v[14:15], v[230:231], s[18:19], -v[14:15]
	v_add_f64 v[12:13], v[14:15], v[12:13]
	v_fma_f64 v[14:15], s[22:23], v[0:1], v[20:21]
	s_mov_b32 s53, 0xbfc7851a
	s_mov_b32 s52, 0xacd6c6b4
	v_add_f64 v[14:15], v[14:15], v[6:7]
	s_mov_b32 s26, 0x7faef3
	v_mul_f64 v[6:7], v[18:19], s[52:53]
	v_accvgpr_write_b32 a79, v21
	s_mov_b32 s27, 0xbfef7484
	v_accvgpr_write_b32 a87, v7
	s_mov_b32 s40, 0x923c349f
	v_accvgpr_write_b32 a78, v20
	v_mul_f64 v[20:21], v[16:17], s[26:27]
	v_accvgpr_write_b32 a86, v6
	v_fma_f64 v[6:7], v[230:231], s[26:27], -v[6:7]
	v_add_f64 v[22:23], v[174:175], -v[186:187]
	s_mov_b32 s41, 0xbfeec746
	v_add_f64 v[24:25], v[6:7], v[8:9]
	v_accvgpr_write_b32 a93, v21
	v_fma_f64 v[6:7], s[52:53], v[0:1], v[20:21]
	s_mov_b32 s36, 0xc61f0d01
	v_mul_f64 v[26:27], v[22:23], s[40:41]
	v_accvgpr_write_b32 a92, v20
	v_add_f64 v[10:11], v[6:7], v[10:11]
	v_add_f64 v[6:7], v[184:185], v[172:173]
	;; [unrolled: 1-line block ×3, first 2 shown]
	s_mov_b32 s37, 0xbfd183b1
	v_accvgpr_write_b32 a83, v27
	s_mov_b32 s38, 0x910ea3b9
	s_mov_b32 s42, 0x4363dd80
	v_add_f64 v[8:9], v[172:173], -v[184:185]
	v_mul_f64 v[30:31], v[20:21], s[36:37]
	v_accvgpr_write_b32 a82, v26
	v_fma_f64 v[26:27], v[6:7], s[36:37], -v[26:27]
	s_mov_b32 s39, 0xbfeb34fa
	s_mov_b32 s43, 0x3fe0d888
	v_add_f64 v[28:29], v[26:27], v[12:13]
	v_fma_f64 v[12:13], s[40:41], v[8:9], v[30:31]
	v_mul_f64 v[76:77], v[22:23], s[42:43]
	v_mul_f64 v[26:27], v[20:21], s[38:39]
	v_accvgpr_write_b32 a89, v31
	v_add_f64 v[14:15], v[12:13], v[14:15]
	v_fma_f64 v[12:13], v[6:7], s[38:39], -v[76:77]
	v_accvgpr_write_b32 a111, v27
	v_accvgpr_write_b32 a88, v30
	v_add_f64 v[30:31], v[12:13], v[24:25]
	v_accvgpr_write_b32 a110, v26
	v_fma_f64 v[12:13], s[42:43], v[8:9], v[26:27]
	v_add_f64 v[26:27], v[182:183], -v[178:179]
	v_mul_f64 v[34:35], v[26:27], s[24:25]
	v_add_f64 v[32:33], v[12:13], v[10:11]
	v_add_f64 v[10:11], v[180:181], v[176:177]
	;; [unrolled: 1-line block ×3, first 2 shown]
	v_accvgpr_write_b32 a91, v35
	v_add_f64 v[12:13], v[180:181], -v[176:177]
	v_mul_f64 v[204:205], v[24:25], s[28:29]
	v_accvgpr_write_b32 a90, v34
	v_fma_f64 v[34:35], v[10:11], s[28:29], -v[34:35]
	v_add_f64 v[34:35], v[34:35], v[28:29]
	v_accvgpr_write_b32 a94, v204
	v_fma_f64 v[28:29], s[24:25], v[12:13], v[204:205]
	s_mov_b32 s47, 0x3feec746
	s_mov_b32 s46, s40
	v_accvgpr_write_b32 a95, v205
	v_add_f64 v[204:205], v[28:29], v[14:15]
	v_mul_f64 v[14:15], v[26:27], s[46:47]
	v_accvgpr_write_b32 a109, v15
	v_accvgpr_write_b32 a108, v14
	v_fma_f64 v[14:15], v[10:11], s[36:37], -v[14:15]
	v_mul_f64 v[28:29], v[24:25], s[36:37]
	v_add_f64 v[206:207], v[14:15], v[30:31]
	v_add_f64 v[30:31], v[190:191], -v[170:171]
	s_mov_b32 s44, s42
	v_accvgpr_write_b32 a119, v29
	v_mul_f64 v[208:209], v[30:31], s[44:45]
	v_accvgpr_write_b32 a118, v28
	v_fma_f64 v[14:15], s[46:47], v[12:13], v[28:29]
	v_add_f64 v[214:215], v[168:169], v[188:189]
	v_add_f64 v[28:29], v[170:171], v[190:191]
	v_accvgpr_write_b32 a96, v208
	v_add_f64 v[32:33], v[14:15], v[32:33]
	v_add_f64 v[14:15], v[188:189], -v[168:169]
	v_mul_f64 v[78:79], v[28:29], s[38:39]
	v_accvgpr_write_b32 a97, v209
	v_fma_f64 v[208:209], v[214:215], s[38:39], -v[208:209]
	v_add_f64 v[208:209], v[208:209], v[34:35]
	v_fma_f64 v[34:35], s[44:45], v[14:15], v[78:79]
	s_mov_b32 s48, s34
	v_add_f64 v[204:205], v[34:35], v[204:205]
	v_mul_f64 v[34:35], v[30:31], s[48:49]
	v_accvgpr_write_b32 a139, v35
	v_mul_f64 v[80:81], v[28:29], s[16:17]
	v_accvgpr_write_b32 a138, v34
	v_fma_f64 v[34:35], v[214:215], s[16:17], -v[34:35]
	v_add_f64 v[206:207], v[34:35], v[206:207]
	v_fma_f64 v[34:35], s[48:49], v[14:15], v[80:81]
	v_add_f64 v[240:241], v[34:35], v[32:33]
	v_add_f64 v[34:35], v[154:155], -v[162:163]
	v_accvgpr_write_b32 a125, v81
	v_add_f64 v[32:33], v[162:163], v[154:155]
	v_mul_f64 v[210:211], v[34:35], s[52:53]
	v_accvgpr_write_b32 a124, v80
	v_add_f64 v[212:213], v[160:161], v[152:153]
	v_mul_f64 v[80:81], v[32:33], s[26:27]
	v_accvgpr_write_b32 a106, v210
	v_add_f64 v[236:237], v[152:153], -v[160:161]
	v_accvgpr_write_b32 a107, v211
	v_fma_f64 v[210:211], v[212:213], s[26:27], -v[210:211]
	v_accvgpr_write_b32 a113, v81
	s_mov_b32 s50, s30
	v_add_f64 v[208:209], v[210:211], v[208:209]
	v_accvgpr_write_b32 a112, v80
	v_fma_f64 v[210:211], s[52:53], v[236:237], v[80:81]
	v_mul_f64 v[80:81], v[34:35], s[50:51]
	v_add_f64 v[210:211], v[210:211], v[204:205]
	v_mul_f64 v[82:83], v[32:33], s[2:3]
	v_fma_f64 v[204:205], v[212:213], s[2:3], -v[80:81]
	v_add_f64 v[204:205], v[204:205], v[206:207]
	v_accvgpr_write_b32 a137, v83
	v_fma_f64 v[206:207], s[50:51], v[236:237], v[82:83]
	v_accvgpr_write_b32 a136, v82
	v_add_f64 v[206:207], v[206:207], v[240:241]
	s_barrier
	s_and_saveexec_b64 s[10:11], vcc
	s_cbranch_execz .LBB0_17
; %bb.16:
	v_accvgpr_write_b32 a20, v52
	v_accvgpr_write_b32 a143, v49
	v_accvgpr_write_b32 a21, v53
	v_accvgpr_write_b32 a22, v54
	v_accvgpr_write_b32 a23, v55
	v_mul_f64 v[52:53], v[222:223], s[52:53]
	v_accvgpr_write_b32 a129, v45
	v_accvgpr_write_b32 a142, v48
	v_mul_f64 v[48:49], v[216:217], s[50:51]
	v_accvgpr_write_b32 a131, v51
	v_fma_f64 v[54:55], s[26:27], v[226:227], v[52:53]
	s_mov_b32 s55, 0x3fe58eea
	s_mov_b32 s54, s20
	v_accvgpr_write_b32 a127, v41
	v_accvgpr_write_b32 a128, v44
	v_mul_f64 v[44:45], v[228:229], s[44:45]
	v_accvgpr_write_b32 a130, v50
	v_fma_f64 v[50:51], s[2:3], v[4:5], v[48:49]
	v_add_f64 v[54:55], v[142:143], v[54:55]
	v_accvgpr_write_b32 a4, v252
	v_accvgpr_write_b32 a126, v40
	v_mul_f64 v[40:41], v[0:1], s[54:55]
	v_accvgpr_write_b32 a135, v43
	v_mov_b64_e32 v[82:83], v[46:47]
	v_fma_f64 v[46:47], s[38:39], v[232:233], v[44:45]
	v_add_f64 v[50:51], v[50:51], v[54:55]
	v_accvgpr_write_b32 a28, v60
	v_accvgpr_write_b32 a5, v253
	;; [unrolled: 1-line block ×4, first 2 shown]
	v_mul_f64 v[252:253], v[8:9], s[24:25]
	v_accvgpr_write_b32 a134, v42
	v_fma_f64 v[42:43], s[14:15], v[16:17], v[40:41]
	v_add_f64 v[46:47], v[46:47], v[50:51]
	v_accvgpr_write_b32 a24, v56
	v_accvgpr_write_b32 a29, v61
	;; [unrolled: 1-line block ×4, first 2 shown]
	v_mul_f64 v[60:61], v[2:3], s[52:53]
	v_accvgpr_write_b32 a132, v244
	v_accvgpr_write_b32 a0, v248
	v_mul_f64 v[248:249], v[12:13], s[48:49]
	v_fma_f64 v[254:255], s[28:29], v[20:21], v[252:253]
	v_add_f64 v[42:43], v[42:43], v[46:47]
	v_accvgpr_write_b32 a25, v57
	v_accvgpr_write_b32 a26, v58
	;; [unrolled: 1-line block ×3, first 2 shown]
	v_mul_f64 v[56:57], v[234:235], s[50:51]
	v_fma_f64 v[62:63], v[218:219], s[26:27], -v[60:61]
	s_mov_b32 s59, 0x3fefdd0d
	s_mov_b32 s58, s22
	v_accvgpr_write_b32 a133, v245
	v_mul_f64 v[244:245], v[14:15], s[40:41]
	v_accvgpr_write_b32 a73, v247           ;  Reload Reuse
	v_accvgpr_write_b32 a2, v250
	v_fma_f64 v[250:251], s[16:17], v[24:25], v[248:249]
	v_add_f64 v[42:43], v[254:255], v[42:43]
	v_mul_f64 v[254:255], v[238:239], s[44:45]
	v_fma_f64 v[58:59], v[224:225], s[2:3], -v[56:57]
	v_add_f64 v[62:63], v[140:141], v[62:63]
	v_mul_f64 v[240:241], v[236:237], s[58:59]
	v_accvgpr_write_b32 a166, v246          ;  Reload Reuse
	v_fma_f64 v[246:247], s[36:37], v[28:29], v[244:245]
	v_add_f64 v[42:43], v[250:251], v[42:43]
	v_mul_f64 v[250:251], v[18:19], s[54:55]
	v_add_f64 v[58:59], v[58:59], v[62:63]
	v_fma_f64 v[62:63], v[220:221], s[38:39], -v[254:255]
	v_fma_f64 v[52:53], v[226:227], s[26:27], -v[52:53]
	v_accvgpr_write_b32 a3, v242
	v_accvgpr_write_b32 a72, v243
	v_fma_f64 v[242:243], s[18:19], v[32:33], v[240:241]
	v_add_f64 v[42:43], v[246:247], v[42:43]
	v_accvgpr_write_b32 a141, v79
	v_mul_f64 v[246:247], v[22:23], s[24:25]
	v_add_f64 v[58:59], v[62:63], v[58:59]
	v_fma_f64 v[62:63], v[230:231], s[14:15], -v[250:251]
	v_fma_f64 v[48:49], v[4:5], s[2:3], -v[48:49]
	v_add_f64 v[52:53], v[142:143], v[52:53]
	v_accvgpr_write_b32 a140, v78
	v_add_f64 v[78:79], v[242:243], v[42:43]
	v_mul_f64 v[242:243], v[26:27], s[48:49]
	v_add_f64 v[58:59], v[62:63], v[58:59]
	v_fma_f64 v[62:63], v[6:7], s[28:29], -v[246:247]
	v_fma_f64 v[44:45], v[232:233], s[38:39], -v[44:45]
	v_add_f64 v[48:49], v[48:49], v[52:53]
	v_mul_f64 v[50:51], v[30:31], s[40:41]
	v_add_f64 v[58:59], v[62:63], v[58:59]
	v_fma_f64 v[62:63], v[10:11], s[16:17], -v[242:243]
	v_fma_f64 v[40:41], v[16:17], s[14:15], -v[40:41]
	v_add_f64 v[44:45], v[44:45], v[48:49]
	v_mul_f64 v[42:43], v[34:35], s[58:59]
	v_fma_f64 v[54:55], v[214:215], s[36:37], -v[50:51]
	v_add_f64 v[58:59], v[62:63], v[58:59]
	v_fma_f64 v[62:63], v[20:21], s[28:29], -v[252:253]
	v_add_f64 v[40:41], v[40:41], v[44:45]
	;; [unrolled: 2-line block ×3, first 2 shown]
	v_accvgpr_write_b32 a149, v77
	v_fma_f64 v[58:59], v[24:25], s[16:17], -v[248:249]
	v_add_f64 v[40:41], v[62:63], v[40:41]
	v_accvgpr_write_b32 a148, v76
	v_add_f64 v[76:77], v[46:47], v[54:55]
	v_fma_f64 v[54:55], v[28:29], s[36:37], -v[244:245]
	v_add_f64 v[40:41], v[58:59], v[40:41]
	v_fma_f64 v[46:47], v[32:33], s[18:19], -v[240:241]
	v_add_f64 v[40:41], v[54:55], v[40:41]
	v_fmac_f64_e32 v[60:61], s[26:27], v[218:219]
	v_add_f64 v[44:45], v[46:47], v[40:41]
	v_fmac_f64_e32 v[56:57], s[2:3], v[224:225]
	;; [unrolled: 2-line block ×6, first 2 shown]
	v_add_f64 v[40:41], v[246:247], v[40:41]
	v_add_f64 v[40:41], v[242:243], v[40:41]
	v_mul_f64 v[242:243], v[222:223], s[44:45]
	v_mul_f64 v[62:63], v[216:217], s[48:49]
	v_fma_f64 v[244:245], s[38:39], v[226:227], v[242:243]
	s_mov_b32 s57, 0x3fe9895b
	s_mov_b32 s56, s24
	v_mul_f64 v[58:59], v[228:229], s[22:23]
	v_fma_f64 v[240:241], s[16:17], v[4:5], v[62:63]
	v_add_f64 v[244:245], v[142:143], v[244:245]
	v_mul_f64 v[248:249], v[2:3], s[44:45]
	v_fmac_f64_e32 v[50:51], s[36:37], v[214:215]
	v_mul_f64 v[54:55], v[0:1], s[56:57]
	v_fma_f64 v[60:61], s[18:19], v[232:233], v[58:59]
	v_add_f64 v[240:241], v[240:241], v[244:245]
	v_mul_f64 v[244:245], v[234:235], s[48:49]
	v_fma_f64 v[250:251], v[218:219], s[38:39], -v[248:249]
	v_fma_f64 v[242:243], v[226:227], s[38:39], -v[242:243]
	v_fmac_f64_e32 v[42:43], s[18:19], v[212:213]
	v_add_f64 v[40:41], v[50:51], v[40:41]
	v_mul_f64 v[50:51], v[8:9], s[30:31]
	v_fma_f64 v[56:57], s[28:29], v[16:17], v[54:55]
	v_add_f64 v[60:61], v[60:61], v[240:241]
	v_mul_f64 v[240:241], v[238:239], s[22:23]
	v_fma_f64 v[246:247], v[224:225], s[16:17], -v[244:245]
	v_add_f64 v[250:251], v[140:141], v[250:251]
	v_fma_f64 v[62:63], v[4:5], s[16:17], -v[62:63]
	v_add_f64 v[242:243], v[142:143], v[242:243]
	v_add_f64 v[42:43], v[42:43], v[40:41]
	v_accvgpr_write_b32 a123, v45
	v_mul_f64 v[46:47], v[12:13], s[52:53]
	v_fma_f64 v[52:53], s[2:3], v[20:21], v[50:51]
	v_add_f64 v[56:57], v[56:57], v[60:61]
	v_mul_f64 v[60:61], v[18:19], s[56:57]
	v_add_f64 v[246:247], v[246:247], v[250:251]
	v_fma_f64 v[250:251], v[220:221], s[18:19], -v[240:241]
	v_fma_f64 v[58:59], v[232:233], s[18:19], -v[58:59]
	v_add_f64 v[62:63], v[62:63], v[242:243]
	v_accvgpr_write_b32 a122, v44
	v_accvgpr_write_b32 a121, v43
	;; [unrolled: 1-line block ×3, first 2 shown]
	v_mul_f64 v[42:43], v[14:15], s[54:55]
	v_fma_f64 v[48:49], s[26:27], v[24:25], v[46:47]
	v_add_f64 v[52:53], v[52:53], v[56:57]
	v_mul_f64 v[56:57], v[22:23], s[30:31]
	v_add_f64 v[246:247], v[250:251], v[246:247]
	v_fma_f64 v[250:251], v[230:231], s[28:29], -v[60:61]
	v_fma_f64 v[54:55], v[16:17], s[28:29], -v[54:55]
	v_add_f64 v[58:59], v[58:59], v[62:63]
	v_fma_f64 v[44:45], s[14:15], v[28:29], v[42:43]
	v_add_f64 v[48:49], v[48:49], v[52:53]
	v_mul_f64 v[52:53], v[26:27], s[52:53]
	v_add_f64 v[246:247], v[250:251], v[246:247]
	v_fma_f64 v[250:251], v[6:7], s[2:3], -v[56:57]
	v_fma_f64 v[50:51], v[20:21], s[2:3], -v[50:51]
	v_add_f64 v[54:55], v[54:55], v[58:59]
	v_add_f64 v[44:45], v[44:45], v[48:49]
	v_mul_f64 v[48:49], v[30:31], s[54:55]
	v_add_f64 v[246:247], v[250:251], v[246:247]
	v_fma_f64 v[250:251], v[10:11], s[26:27], -v[52:53]
	v_fma_f64 v[46:47], v[24:25], s[26:27], -v[46:47]
	v_add_f64 v[50:51], v[50:51], v[54:55]
	v_mul_f64 v[40:41], v[236:237], s[40:41]
	v_add_f64 v[246:247], v[250:251], v[246:247]
	v_fma_f64 v[250:251], v[214:215], s[14:15], -v[48:49]
	v_fma_f64 v[42:43], v[28:29], s[14:15], -v[42:43]
	v_add_f64 v[46:47], v[46:47], v[50:51]
	v_add_f64 v[246:247], v[250:251], v[246:247]
	v_fma_f64 v[250:251], s[36:37], v[32:33], v[40:41]
	v_fma_f64 v[40:41], v[32:33], s[36:37], -v[40:41]
	v_add_f64 v[42:43], v[42:43], v[46:47]
	v_fmac_f64_e32 v[248:249], s[38:39], v[218:219]
	v_add_f64 v[42:43], v[40:41], v[42:43]
	v_fmac_f64_e32 v[244:245], s[16:17], v[224:225]
	;; [unrolled: 2-line block ×4, first 2 shown]
	v_add_f64 v[40:41], v[240:241], v[40:41]
	v_mul_f64 v[240:241], v[222:223], s[24:25]
	v_fmac_f64_e32 v[56:57], s[2:3], v[6:7]
	v_add_f64 v[40:41], v[60:61], v[40:41]
	v_mul_f64 v[60:61], v[216:217], s[46:47]
	v_fma_f64 v[242:243], s[28:29], v[226:227], v[240:241]
	v_accvgpr_write_b32 a101, v79
	v_fmac_f64_e32 v[52:53], s[26:27], v[10:11]
	v_add_f64 v[40:41], v[56:57], v[40:41]
	v_mul_f64 v[56:57], v[228:229], s[30:31]
	v_fma_f64 v[62:63], s[36:37], v[4:5], v[60:61]
	v_add_f64 v[242:243], v[142:143], v[242:243]
	v_accvgpr_write_b32 a100, v78
	v_accvgpr_write_b32 a99, v77
	;; [unrolled: 1-line block ×3, first 2 shown]
	v_add_f64 v[78:79], v[250:251], v[44:45]
	v_mul_f64 v[44:45], v[34:35], s[40:41]
	v_fmac_f64_e32 v[48:49], s[14:15], v[214:215]
	v_add_f64 v[40:41], v[52:53], v[40:41]
	v_mul_f64 v[52:53], v[0:1], s[44:45]
	v_fma_f64 v[58:59], s[2:3], v[232:233], v[56:57]
	v_add_f64 v[62:63], v[62:63], v[242:243]
	v_fma_f64 v[250:251], v[212:213], s[36:37], -v[44:45]
	v_fmac_f64_e32 v[44:45], s[36:37], v[212:213]
	v_add_f64 v[40:41], v[48:49], v[40:41]
	v_mul_f64 v[48:49], v[8:9], s[58:59]
	v_fma_f64 v[54:55], s[38:39], v[16:17], v[52:53]
	v_add_f64 v[58:59], v[58:59], v[62:63]
	v_add_f64 v[40:41], v[44:45], v[40:41]
	v_accvgpr_write_b32 a153, v43
	v_mul_f64 v[44:45], v[12:13], s[20:21]
	v_fma_f64 v[50:51], s[18:19], v[20:21], v[48:49]
	v_add_f64 v[54:55], v[54:55], v[58:59]
	v_mul_f64 v[62:63], v[2:3], s[24:25]
	v_accvgpr_write_b32 a152, v42
	v_accvgpr_write_b32 a151, v41
	v_accvgpr_write_b32 a150, v40
	v_mul_f64 v[40:41], v[14:15], s[52:53]
	v_fma_f64 v[46:47], s[14:15], v[24:25], v[44:45]
	v_add_f64 v[50:51], v[50:51], v[54:55]
	v_mul_f64 v[54:55], v[234:235], s[46:47]
	v_fma_f64 v[242:243], v[218:219], s[28:29], -v[62:63]
	v_fma_f64 v[42:43], s[26:27], v[28:29], v[40:41]
	v_add_f64 v[46:47], v[46:47], v[50:51]
	v_mul_f64 v[50:51], v[238:239], s[30:31]
	v_fma_f64 v[58:59], v[224:225], s[36:37], -v[54:55]
	v_add_f64 v[242:243], v[140:141], v[242:243]
	v_add_f64 v[42:43], v[42:43], v[46:47]
	v_mul_f64 v[46:47], v[18:19], s[44:45]
	v_add_f64 v[58:59], v[58:59], v[242:243]
	v_fma_f64 v[242:243], v[220:221], s[2:3], -v[50:51]
	v_add_f64 v[58:59], v[242:243], v[58:59]
	v_fma_f64 v[242:243], v[230:231], s[38:39], -v[46:47]
	v_add_f64 v[58:59], v[242:243], v[58:59]
	v_mul_f64 v[242:243], v[22:23], s[58:59]
	v_fma_f64 v[244:245], v[6:7], s[18:19], -v[242:243]
	v_add_f64 v[58:59], v[244:245], v[58:59]
	v_mul_f64 v[244:245], v[26:27], s[20:21]
	v_add_f64 v[76:77], v[250:251], v[246:247]
	v_fma_f64 v[246:247], v[10:11], s[14:15], -v[244:245]
	v_add_f64 v[58:59], v[246:247], v[58:59]
	v_mul_f64 v[246:247], v[30:31], s[52:53]
	v_fma_f64 v[248:249], v[214:215], s[26:27], -v[246:247]
	v_add_f64 v[58:59], v[248:249], v[58:59]
	v_mul_f64 v[248:249], v[236:237], s[48:49]
	v_accvgpr_write_b32 a147, v79
	v_fma_f64 v[250:251], s[16:17], v[32:33], v[248:249]
	v_accvgpr_write_b32 a146, v78
	v_accvgpr_write_b32 a145, v77
	;; [unrolled: 1-line block ×3, first 2 shown]
	v_add_f64 v[78:79], v[250:251], v[42:43]
	v_mul_f64 v[42:43], v[34:35], s[48:49]
	v_fma_f64 v[250:251], v[212:213], s[16:17], -v[42:43]
	v_add_f64 v[76:77], v[250:251], v[58:59]
	v_fma_f64 v[58:59], v[4:5], s[36:37], -v[60:61]
	v_fma_f64 v[60:61], v[226:227], s[28:29], -v[240:241]
	v_add_f64 v[60:61], v[142:143], v[60:61]
	v_add_f64 v[58:59], v[58:59], v[60:61]
	v_fma_f64 v[56:57], v[232:233], s[2:3], -v[56:57]
	v_add_f64 v[56:57], v[56:57], v[58:59]
	v_fma_f64 v[52:53], v[16:17], s[38:39], -v[52:53]
	;; [unrolled: 2-line block ×4, first 2 shown]
	v_fma_f64 v[40:41], v[28:29], s[26:27], -v[40:41]
	v_add_f64 v[44:45], v[44:45], v[48:49]
	v_fma_f64 v[52:53], v[32:33], s[16:17], -v[248:249]
	v_add_f64 v[40:41], v[40:41], v[44:45]
	v_fmac_f64_e32 v[62:63], s[28:29], v[218:219]
	v_add_f64 v[44:45], v[52:53], v[40:41]
	v_fmac_f64_e32 v[54:55], s[36:37], v[224:225]
	;; [unrolled: 2-line block ×5, first 2 shown]
	v_add_f64 v[40:41], v[46:47], v[40:41]
	v_mul_f64 v[56:57], v[222:223], s[40:41]
	v_fmac_f64_e32 v[244:245], s[14:15], v[10:11]
	v_add_f64 v[40:41], v[242:243], v[40:41]
	v_mul_f64 v[52:53], v[216:217], s[42:43]
	v_fma_f64 v[58:59], s[36:37], v[226:227], v[56:57]
	v_fmac_f64_e32 v[246:247], s[26:27], v[214:215]
	v_add_f64 v[40:41], v[244:245], v[40:41]
	v_mul_f64 v[50:51], v[228:229], s[54:55]
	v_fma_f64 v[54:55], s[38:39], v[4:5], v[52:53]
	v_add_f64 v[58:59], v[142:143], v[58:59]
	v_fmac_f64_e32 v[42:43], s[16:17], v[212:213]
	v_add_f64 v[40:41], v[246:247], v[40:41]
	v_mul_f64 v[48:49], v[0:1], s[34:35]
	v_add_f64 v[54:55], v[54:55], v[58:59]
	v_fma_f64 v[58:59], s[14:15], v[232:233], v[50:51]
	v_add_f64 v[42:43], v[42:43], v[40:41]
	v_accvgpr_write_b32 a161, v45
	v_mul_f64 v[46:47], v[8:9], s[52:53]
	v_add_f64 v[54:55], v[58:59], v[54:55]
	v_fma_f64 v[58:59], s[16:17], v[16:17], v[48:49]
	v_accvgpr_write_b32 a160, v44
	v_accvgpr_write_b32 a159, v43
	;; [unrolled: 1-line block ×3, first 2 shown]
	v_mul_f64 v[44:45], v[12:13], s[58:59]
	v_add_f64 v[54:55], v[58:59], v[54:55]
	v_fma_f64 v[58:59], s[26:27], v[20:21], v[46:47]
	v_mul_f64 v[40:41], v[14:15], s[30:31]
	v_add_f64 v[54:55], v[58:59], v[54:55]
	v_fma_f64 v[58:59], s[18:19], v[24:25], v[44:45]
	v_fma_f64 v[42:43], s[2:3], v[28:29], v[40:41]
	v_add_f64 v[54:55], v[58:59], v[54:55]
	v_add_f64 v[42:43], v[42:43], v[54:55]
	v_mul_f64 v[54:55], v[2:3], s[40:41]
	v_fma_f64 v[58:59], v[218:219], s[36:37], -v[54:55]
	v_mul_f64 v[60:61], v[234:235], s[42:43]
	v_add_f64 v[58:59], v[140:141], v[58:59]
	v_fma_f64 v[62:63], v[224:225], s[38:39], -v[60:61]
	v_fma_f64 v[56:57], v[226:227], s[36:37], -v[56:57]
	v_add_f64 v[58:59], v[62:63], v[58:59]
	v_mul_f64 v[62:63], v[238:239], s[54:55]
	v_fma_f64 v[52:53], v[4:5], s[38:39], -v[52:53]
	v_add_f64 v[56:57], v[142:143], v[56:57]
	v_fma_f64 v[240:241], v[220:221], s[14:15], -v[62:63]
	v_add_f64 v[52:53], v[52:53], v[56:57]
	;; [unrolled: 2-line block ×3, first 2 shown]
	v_mul_f64 v[240:241], v[18:19], s[34:35]
	v_add_f64 v[50:51], v[50:51], v[52:53]
	v_fma_f64 v[48:49], v[16:17], s[16:17], -v[48:49]
	v_fma_f64 v[242:243], v[230:231], s[16:17], -v[240:241]
	v_mul_f64 v[244:245], v[22:23], s[52:53]
	v_add_f64 v[48:49], v[48:49], v[50:51]
	v_fma_f64 v[46:47], v[20:21], s[26:27], -v[46:47]
	v_add_f64 v[58:59], v[242:243], v[58:59]
	v_fma_f64 v[242:243], v[6:7], s[26:27], -v[244:245]
	v_mul_f64 v[246:247], v[26:27], s[58:59]
	v_add_f64 v[46:47], v[46:47], v[48:49]
	v_fma_f64 v[44:45], v[24:25], s[18:19], -v[44:45]
	v_add_f64 v[58:59], v[242:243], v[58:59]
	v_fma_f64 v[242:243], v[10:11], s[18:19], -v[246:247]
	v_mul_f64 v[248:249], v[30:31], s[30:31]
	v_add_f64 v[44:45], v[44:45], v[46:47]
	v_fma_f64 v[40:41], v[28:29], s[2:3], -v[40:41]
	v_fmac_f64_e32 v[54:55], s[36:37], v[218:219]
	v_add_f64 v[58:59], v[242:243], v[58:59]
	v_fma_f64 v[242:243], v[214:215], s[2:3], -v[248:249]
	v_add_f64 v[40:41], v[40:41], v[44:45]
	v_fmac_f64_e32 v[60:61], s[38:39], v[224:225]
	v_add_f64 v[44:45], v[140:141], v[54:55]
	v_add_f64 v[58:59], v[242:243], v[58:59]
	v_mul_f64 v[242:243], v[236:237], s[24:25]
	v_add_f64 v[44:45], v[60:61], v[44:45]
	v_fmac_f64_e32 v[62:63], s[14:15], v[220:221]
	v_add_f64 v[44:45], v[62:63], v[44:45]
	v_fma_f64 v[46:47], v[32:33], s[28:29], -v[242:243]
	v_fmac_f64_e32 v[240:241], s[16:17], v[230:231]
	v_fma_f64 v[250:251], s[28:29], v[32:33], v[242:243]
	v_add_f64 v[242:243], v[46:47], v[40:41]
	v_fmac_f64_e32 v[244:245], s[26:27], v[6:7]
	v_add_f64 v[40:41], v[240:241], v[44:45]
	v_accvgpr_write_b32 a157, v79
	v_fmac_f64_e32 v[246:247], s[18:19], v[10:11]
	v_add_f64 v[40:41], v[244:245], v[40:41]
	v_accvgpr_write_b32 a156, v78
	v_accvgpr_write_b32 a155, v77
	;; [unrolled: 1-line block ×3, first 2 shown]
	v_add_f64 v[78:79], v[250:251], v[42:43]
	v_mul_f64 v[42:43], v[34:35], s[24:25]
	v_fmac_f64_e32 v[248:249], s[2:3], v[214:215]
	v_add_f64 v[40:41], v[246:247], v[40:41]
	v_mul_f64 v[48:49], v[222:223], s[22:23]
	v_fma_f64 v[250:251], v[212:213], s[28:29], -v[42:43]
	v_fmac_f64_e32 v[42:43], s[28:29], v[212:213]
	v_add_f64 v[40:41], v[248:249], v[40:41]
	v_mul_f64 v[44:45], v[216:217], s[52:53]
	v_fma_f64 v[50:51], s[18:19], v[226:227], v[48:49]
	v_add_f64 v[240:241], v[42:43], v[40:41]
	v_mul_f64 v[42:43], v[228:229], s[46:47]
	v_fma_f64 v[46:47], s[26:27], v[4:5], v[44:45]
	v_add_f64 v[50:51], v[142:143], v[50:51]
	v_mul_f64 v[40:41], v[0:1], s[50:51]
	v_add_f64 v[46:47], v[46:47], v[50:51]
	v_fma_f64 v[50:51], s[36:37], v[232:233], v[42:43]
	v_add_f64 v[46:47], v[50:51], v[46:47]
	v_fma_f64 v[50:51], s[2:3], v[16:17], v[40:41]
	v_add_f64 v[46:47], v[50:51], v[46:47]
	v_mul_f64 v[50:51], v[8:9], s[34:35]
	v_fma_f64 v[52:53], s[16:17], v[20:21], v[50:51]
	v_add_f64 v[46:47], v[52:53], v[46:47]
	v_mul_f64 v[52:53], v[12:13], s[44:45]
	v_fma_f64 v[48:49], v[226:227], s[18:19], -v[48:49]
	v_fma_f64 v[54:55], s[38:39], v[24:25], v[52:53]
	v_fma_f64 v[44:45], v[4:5], s[26:27], -v[44:45]
	v_add_f64 v[48:49], v[142:143], v[48:49]
	v_add_f64 v[46:47], v[54:55], v[46:47]
	v_mul_f64 v[54:55], v[14:15], s[56:57]
	v_add_f64 v[44:45], v[44:45], v[48:49]
	v_fma_f64 v[42:43], v[232:233], s[36:37], -v[42:43]
	v_fma_f64 v[56:57], s[28:29], v[28:29], v[54:55]
	v_add_f64 v[42:43], v[42:43], v[44:45]
	v_fma_f64 v[40:41], v[16:17], s[2:3], -v[40:41]
	v_add_f64 v[46:47], v[56:57], v[46:47]
	v_mul_f64 v[56:57], v[2:3], s[22:23]
	v_add_f64 v[40:41], v[40:41], v[42:43]
	v_fma_f64 v[42:43], v[20:21], s[16:17], -v[50:51]
	v_add_f64 v[76:77], v[250:251], v[58:59]
	v_fma_f64 v[58:59], v[218:219], s[18:19], -v[56:57]
	v_mul_f64 v[60:61], v[234:235], s[52:53]
	v_add_f64 v[40:41], v[42:43], v[40:41]
	v_fma_f64 v[42:43], v[24:25], s[38:39], -v[52:53]
	v_add_f64 v[58:59], v[140:141], v[58:59]
	v_fma_f64 v[62:63], v[224:225], s[26:27], -v[60:61]
	;; [unrolled: 2-line block ×3, first 2 shown]
	v_fmac_f64_e32 v[56:57], s[18:19], v[218:219]
	v_add_f64 v[58:59], v[62:63], v[58:59]
	v_mul_f64 v[62:63], v[238:239], s[46:47]
	v_add_f64 v[40:41], v[42:43], v[40:41]
	v_fmac_f64_e32 v[60:61], s[26:27], v[224:225]
	v_add_f64 v[42:43], v[140:141], v[56:57]
	v_fma_f64 v[244:245], v[220:221], s[36:37], -v[62:63]
	v_mul_f64 v[248:249], v[18:19], s[50:51]
	v_add_f64 v[42:43], v[60:61], v[42:43]
	v_fmac_f64_e32 v[62:63], s[36:37], v[220:221]
	v_accvgpr_write_b32 a165, v79
	v_add_f64 v[58:59], v[244:245], v[58:59]
	v_fma_f64 v[244:245], v[230:231], s[2:3], -v[248:249]
	v_mul_f64 v[250:251], v[22:23], s[34:35]
	v_add_f64 v[42:43], v[62:63], v[42:43]
	v_fmac_f64_e32 v[248:249], s[2:3], v[230:231]
	v_accvgpr_write_b32 a164, v78
	v_accvgpr_write_b32 a163, v77
	;; [unrolled: 1-line block ×3, first 2 shown]
	v_add_f64 v[58:59], v[244:245], v[58:59]
	v_fma_f64 v[244:245], v[6:7], s[16:17], -v[250:251]
	v_mul_f64 v[252:253], v[26:27], s[44:45]
	v_mul_f64 v[76:77], v[236:237], s[54:55]
	v_add_f64 v[42:43], v[248:249], v[42:43]
	v_fmac_f64_e32 v[250:251], s[16:17], v[6:7]
	v_add_f64 v[58:59], v[244:245], v[58:59]
	v_fma_f64 v[244:245], v[10:11], s[38:39], -v[252:253]
	v_mul_f64 v[254:255], v[30:31], s[56:57]
	v_fma_f64 v[78:79], s[14:15], v[32:33], v[76:77]
	v_add_f64 v[42:43], v[250:251], v[42:43]
	v_fmac_f64_e32 v[252:253], s[38:39], v[10:11]
	v_add_f64 v[58:59], v[244:245], v[58:59]
	v_fma_f64 v[244:245], v[214:215], s[28:29], -v[254:255]
	v_add_f64 v[246:247], v[78:79], v[46:47]
	v_mul_f64 v[46:47], v[34:35], s[54:55]
	v_add_f64 v[42:43], v[252:253], v[42:43]
	v_fmac_f64_e32 v[254:255], s[28:29], v[214:215]
	v_fma_f64 v[44:45], v[32:33], s[14:15], -v[76:77]
	v_fma_f64 v[78:79], v[212:213], s[14:15], -v[46:47]
	v_add_f64 v[42:43], v[254:255], v[42:43]
	v_add_f64 v[250:251], v[44:45], v[40:41]
	v_fmac_f64_e32 v[46:47], s[14:15], v[212:213]
	v_mul_f64 v[40:41], v[222:223], s[34:35]
	v_add_f64 v[248:249], v[46:47], v[42:43]
	v_fma_f64 v[42:43], s[16:17], v[226:227], v[40:41]
	v_mul_f64 v[44:45], v[216:217], s[24:25]
	v_add_f64 v[42:43], v[142:143], v[42:43]
	v_fma_f64 v[46:47], s[28:29], v[4:5], v[44:45]
	v_add_f64 v[42:43], v[46:47], v[42:43]
	v_mul_f64 v[46:47], v[0:1], s[52:53]
	v_mul_f64 v[48:49], v[236:237], s[52:53]
	s_mov_b32 s53, 0x3fc7851a
	v_mul_f64 v[50:51], v[228:229], s[52:53]
	v_fma_f64 v[52:53], s[26:27], v[232:233], v[50:51]
	v_add_f64 v[42:43], v[52:53], v[42:43]
	v_mul_f64 v[52:53], v[0:1], s[46:47]
	v_fma_f64 v[54:55], s[36:37], v[16:17], v[52:53]
	v_add_f64 v[42:43], v[54:55], v[42:43]
	;; [unrolled: 3-line block ×3, first 2 shown]
	v_add_f64 v[42:43], v[56:57], v[42:43]
	v_mul_f64 v[56:57], v[12:13], s[30:31]
	v_add_f64 v[244:245], v[78:79], v[58:59]
	v_fma_f64 v[58:59], s[2:3], v[24:25], v[56:57]
	v_add_f64 v[42:43], v[58:59], v[42:43]
	v_mul_f64 v[58:59], v[14:15], s[22:23]
	v_fma_f64 v[60:61], s[18:19], v[28:29], v[58:59]
	v_mul_f64 v[2:3], v[2:3], s[34:35]
	v_add_f64 v[42:43], v[60:61], v[42:43]
	v_mul_f64 v[60:61], v[234:235], s[24:25]
	v_fma_f64 v[62:63], v[218:219], s[16:17], -v[2:3]
	v_add_f64 v[62:63], v[140:141], v[62:63]
	v_fma_f64 v[76:77], v[224:225], s[28:29], -v[60:61]
	v_add_f64 v[62:63], v[76:77], v[62:63]
	v_mul_f64 v[76:77], v[238:239], s[52:53]
	v_fma_f64 v[78:79], v[220:221], s[26:27], -v[76:77]
	v_mul_f64 v[18:19], v[18:19], s[46:47]
	v_add_f64 v[62:63], v[78:79], v[62:63]
	v_fma_f64 v[78:79], v[230:231], s[36:37], -v[18:19]
	v_mul_f64 v[22:23], v[22:23], s[54:55]
	v_add_f64 v[62:63], v[78:79], v[62:63]
	;; [unrolled: 3-line block ×4, first 2 shown]
	v_fma_f64 v[78:79], v[214:215], s[18:19], -v[30:31]
	v_add_f64 v[62:63], v[78:79], v[62:63]
	v_mul_f64 v[78:79], v[236:237], s[44:45]
	v_fma_f64 v[234:235], s[38:39], v[32:33], v[78:79]
	v_mul_f64 v[34:35], v[34:35], s[44:45]
	v_fma_f64 v[40:41], v[226:227], s[16:17], -v[40:41]
	v_fmac_f64_e32 v[2:3], s[16:17], v[218:219]
	v_add_f64 v[254:255], v[234:235], v[42:43]
	v_fma_f64 v[42:43], v[212:213], s[38:39], -v[34:35]
	v_fma_f64 v[4:5], v[4:5], s[28:29], -v[44:45]
	v_add_f64 v[40:41], v[142:143], v[40:41]
	v_fmac_f64_e32 v[60:61], s[28:29], v[224:225]
	v_add_f64 v[2:3], v[140:141], v[2:3]
	v_add_f64 v[252:253], v[42:43], v[62:63]
	v_fma_f64 v[42:43], v[232:233], s[26:27], -v[50:51]
	v_add_f64 v[4:5], v[4:5], v[40:41]
	v_add_f64 v[2:3], v[60:61], v[2:3]
	v_fmac_f64_e32 v[76:77], s[26:27], v[220:221]
	v_fma_f64 v[16:17], v[16:17], s[36:37], -v[52:53]
	v_add_f64 v[4:5], v[42:43], v[4:5]
	v_add_f64 v[2:3], v[76:77], v[2:3]
	v_fmac_f64_e32 v[18:19], s[36:37], v[230:231]
	v_fma_f64 v[20:21], v[20:21], s[14:15], -v[54:55]
	v_add_f64 v[4:5], v[16:17], v[4:5]
	v_mul_f64 v[42:43], v[216:217], s[20:21]
	v_mul_f64 v[50:51], v[216:217], s[22:23]
	v_add_f64 v[2:3], v[18:19], v[2:3]
	v_fmac_f64_e32 v[22:23], s[14:15], v[6:7]
	v_accvgpr_read_b32 v217, a111
	v_fma_f64 v[24:25], v[24:25], s[2:3], -v[56:57]
	v_add_f64 v[4:5], v[20:21], v[4:5]
	v_mul_f64 v[60:61], v[0:1], s[22:23]
	v_add_f64 v[0:1], v[22:23], v[2:3]
	v_mul_f64 v[22:23], v[6:7], s[36:37]
	v_mul_f64 v[76:77], v[6:7], s[38:39]
	;; [unrolled: 1-line block ×3, first 2 shown]
	v_accvgpr_read_b32 v216, a110
	v_fma_f64 v[28:29], v[28:29], s[18:19], -v[58:59]
	v_add_f64 v[4:5], v[24:25], v[4:5]
	v_add_f64 v[6:7], v[216:217], -v[6:7]
	v_accvgpr_read_b32 v217, a93
	v_fma_f64 v[32:33], v[32:33], s[38:39], -v[78:79]
	v_mul_f64 v[16:17], v[218:219], s[2:3]
	v_mul_f64 v[24:25], v[218:219], s[14:15]
	v_add_f64 v[4:5], v[28:29], v[4:5]
	v_fmac_f64_e32 v[26:27], s[2:3], v[10:11]
	v_mov_b64_e32 v[218:219], v[80:81]
	v_accvgpr_read_b32 v80, a118
	v_accvgpr_read_b32 v216, a92
	v_add_f64 v[0:1], v[26:27], v[0:1]
	v_mul_f64 v[26:27], v[8:9], s[40:41]
	v_mul_f64 v[8:9], v[10:11], s[28:29]
	v_add_f64 v[2:3], v[32:33], v[4:5]
	v_mul_f64 v[4:5], v[10:11], s[36:37]
	v_mul_f64 v[10:11], v[12:13], s[46:47]
	v_accvgpr_read_b32 v81, a119
	v_add_f64 v[46:47], v[216:217], -v[46:47]
	v_accvgpr_read_b32 v217, a85
	v_mul_f64 v[58:59], v[228:229], s[24:25]
	v_add_f64 v[10:11], v[80:81], -v[10:11]
	v_accvgpr_read_b32 v216, a84
	v_accvgpr_read_b32 v80, a102
	v_mul_f64 v[40:41], v[222:223], s[20:21]
	v_add_f64 v[58:59], v[216:217], -v[58:59]
	v_accvgpr_read_b32 v217, a77
	v_accvgpr_read_b32 v81, a103
	;; [unrolled: 1-line block ×3, first 2 shown]
	v_add_f64 v[40:41], v[80:81], -v[40:41]
	v_fmac_f64_e32 v[30:31], s[18:19], v[214:215]
	v_add_f64 v[50:51], v[216:217], -v[50:51]
	v_add_f64 v[40:41], v[142:143], v[40:41]
	v_add_f64 v[0:1], v[30:31], v[0:1]
	v_fmac_f64_e32 v[34:35], s[38:39], v[212:213]
	v_add_f64 v[40:41], v[50:51], v[40:41]
	v_add_f64 v[0:1], v[34:35], v[0:1]
	v_accvgpr_read_b32 v34, a136
	v_add_f64 v[40:41], v[58:59], v[40:41]
	v_mul_f64 v[30:31], v[12:13], s[24:25]
	v_mul_f64 v[12:13], v[214:215], s[38:39]
	;; [unrolled: 1-line block ×3, first 2 shown]
	v_accvgpr_read_b32 v35, a137
	v_mul_f64 v[78:79], v[214:215], s[16:17]
	v_accvgpr_read_b32 v215, a125
	v_add_f64 v[40:41], v[46:47], v[40:41]
	v_accvgpr_read_b32 v50, a104
	v_mul_f64 v[44:45], v[224:225], s[18:19]
	v_add_f64 v[32:33], v[34:35], -v[32:33]
	v_mul_f64 v[34:35], v[14:15], s[44:45]
	v_mul_f64 v[14:15], v[14:15], s[48:49]
	v_accvgpr_read_b32 v214, a124
	v_add_f64 v[6:7], v[6:7], v[40:41]
	v_accvgpr_read_b32 v51, a105
	v_add_f64 v[14:15], v[214:215], -v[14:15]
	v_add_f64 v[6:7], v[10:11], v[6:7]
	v_add_f64 v[44:45], v[44:45], v[50:51]
	v_accvgpr_read_b32 v50, a142
	v_add_f64 v[6:7], v[14:15], v[6:7]
	v_accvgpr_read_b32 v51, a143
	v_add_f64 v[6:7], v[32:33], v[6:7]
	v_accvgpr_read_b32 v32, a108
	v_accvgpr_read_b32 v46, a80
	v_add_f64 v[24:25], v[24:25], v[50:51]
	v_mul_f64 v[56:57], v[220:221], s[28:29]
	v_accvgpr_read_b32 v33, a109
	v_accvgpr_read_b32 v40, a86
	;; [unrolled: 1-line block ×3, first 2 shown]
	v_add_f64 v[24:25], v[140:141], v[24:25]
	v_mul_f64 v[62:63], v[230:231], s[26:27]
	v_add_f64 v[4:5], v[4:5], v[32:33]
	v_accvgpr_read_b32 v32, a148
	v_accvgpr_read_b32 v41, a87
	v_add_f64 v[46:47], v[56:57], v[46:47]
	v_add_f64 v[24:25], v[44:45], v[24:25]
	v_accvgpr_read_b32 v33, a149
	v_add_f64 v[40:41], v[62:63], v[40:41]
	v_add_f64 v[24:25], v[46:47], v[24:25]
	;; [unrolled: 1-line block ×4, first 2 shown]
	v_accvgpr_read_b32 v14, a138
	v_add_f64 v[24:25], v[32:33], v[24:25]
	v_accvgpr_read_b32 v15, a139
	v_add_f64 v[4:5], v[4:5], v[24:25]
	;; [unrolled: 2-line block ×3, first 2 shown]
	v_accvgpr_read_b32 v25, a95
	v_accvgpr_read_b32 v40, a134
	v_mul_f64 v[20:21], v[222:223], s[30:31]
	v_add_f64 v[4:5], v[14:15], v[4:5]
	v_accvgpr_read_b32 v14, a140
	v_add_f64 v[24:25], v[24:25], -v[30:31]
	v_accvgpr_read_b32 v30, a88
	v_accvgpr_read_b32 v41, a135
	;; [unrolled: 1-line block ×5, first 2 shown]
	v_add_f64 v[20:21], v[40:41], -v[20:21]
	v_mul_f64 v[54:55], v[228:229], s[34:35]
	v_add_f64 v[14:15], v[14:15], -v[34:35]
	v_add_f64 v[26:27], v[30:31], -v[26:27]
	v_accvgpr_read_b32 v30, a78
	v_accvgpr_read_b32 v33, a133
	v_add_f64 v[34:35], v[82:83], -v[42:43]
	v_add_f64 v[20:21], v[142:143], v[20:21]
	v_accvgpr_read_b32 v31, a79
	v_add_f64 v[32:33], v[32:33], -v[54:55]
	v_add_f64 v[20:21], v[34:35], v[20:21]
	v_add_f64 v[30:31], v[30:31], -v[60:61]
	v_add_f64 v[20:21], v[32:33], v[20:21]
	v_add_f64 v[20:21], v[30:31], v[20:21]
	;; [unrolled: 1-line block ×5, first 2 shown]
	v_accvgpr_read_b32 v20, a96
	v_accvgpr_read_b32 v21, a97
	v_add_f64 v[12:13], v[12:13], v[20:21]
	v_accvgpr_read_b32 v20, a90
	v_accvgpr_read_b32 v21, a91
	v_add_f64 v[8:9], v[8:9], v[20:21]
	;; [unrolled: 3-line block ×3, first 2 shown]
	v_accvgpr_read_b32 v22, a74
	v_accvgpr_read_b32 v26, a126
	v_mul_f64 v[18:19], v[230:231], s[18:19]
	v_accvgpr_read_b32 v23, a75
	v_accvgpr_read_b32 v24, a128
	v_accvgpr_read_b32 v27, a127
	v_mul_f64 v[28:29], v[224:225], s[14:15]
	v_add_f64 v[18:19], v[18:19], v[22:23]
	v_accvgpr_read_b32 v22, a130
	v_accvgpr_read_b32 v25, a129
	v_add_f64 v[16:17], v[16:17], v[26:27]
	v_mul_f64 v[52:53], v[220:221], s[16:17]
	v_accvgpr_read_b32 v23, a131
	v_add_f64 v[24:25], v[28:29], v[24:25]
	v_add_f64 v[16:17], v[140:141], v[16:17]
	;; [unrolled: 1-line block ×16, first 2 shown]
	v_mul_f64 v[214:215], v[212:213], s[26:27]
	v_mul_f64 v[212:213], v[212:213], s[2:3]
	v_add_f64 v[12:13], v[154:155], v[12:13]
	v_add_f64 v[10:11], v[212:213], v[218:219]
	;; [unrolled: 1-line block ×4, first 2 shown]
	v_accvgpr_read_b32 v10, a112
	v_add_f64 v[12:13], v[170:171], v[12:13]
	v_accvgpr_read_b32 v11, a113
	v_add_f64 v[12:13], v[178:179], v[12:13]
	v_add_f64 v[10:11], v[10:11], -v[48:49]
	v_add_f64 v[12:13], v[186:187], v[12:13]
	v_add_f64 v[10:11], v[10:11], v[14:15]
	v_accvgpr_read_b32 v14, a106
	v_add_f64 v[12:13], v[194:195], v[12:13]
	v_accvgpr_read_b32 v15, a107
	v_add_f64 v[12:13], v[198:199], v[12:13]
	v_add_f64 v[14:15], v[214:215], v[14:15]
	;; [unrolled: 1-line block ×18, first 2 shown]
	v_accvgpr_read_b32 v17, a73             ;  Reload Reuse
	v_add_f64 v[12:13], v[196:197], v[12:13]
	v_accvgpr_read_b32 v16, a166            ;  Reload Reuse
	v_add_f64 v[12:13], v[200:201], v[12:13]
	v_mul_lo_u16_e32 v16, 17, v16
	v_accvgpr_read_b32 v17, a1
	v_add_f64 v[12:13], v[136:137], v[12:13]
	v_lshl_add_u32 v16, v16, 4, v17
	v_accvgpr_read_b32 v59, a27
	v_accvgpr_read_b32 v63, a31
	;; [unrolled: 1-line block ×3, first 2 shown]
	ds_write_b128 v16, v[12:15]
	ds_write_b128 v16, v[8:11] offset:16
	ds_write_b128 v16, v[4:7] offset:32
	;; [unrolled: 1-line block ×13, first 2 shown]
	v_accvgpr_read_b32 v247, a73            ;  Reload Reuse
	ds_write_b128 v16, v[252:255] offset:224
	v_accvgpr_read_b32 v255, a7
	v_accvgpr_read_b32 v58, a26
	;; [unrolled: 1-line block ×14, first 2 shown]
	v_accvgpr_read_b32 v246, a166           ;  Reload Reuse
	v_accvgpr_read_b32 v254, a6
	v_accvgpr_read_b32 v253, a5
	;; [unrolled: 1-line block ×3, first 2 shown]
	ds_write_b128 v16, v[204:207] offset:240
	ds_write_b128 v16, v[208:211] offset:256
.LBB0_17:
	s_or_b64 exec, exec, s[10:11]
	s_waitcnt lgkmcnt(0)
	s_barrier
	ds_read_b128 v[144:147], v36
	ds_read_b128 v[140:143], v36 offset:1360
	ds_read_b128 v[184:187], v36 offset:8704
	;; [unrolled: 1-line block ×14, first 2 shown]
	s_and_saveexec_b64 s[2:3], s[0:1]
	s_cbranch_execz .LBB0_19
; %bb.18:
	ds_read_b128 v[204:207], v36 offset:4080
	ds_read_b128 v[208:211], v36 offset:8432
	;; [unrolled: 1-line block ×5, first 2 shown]
.LBB0_19:
	s_or_b64 exec, exec, s[2:3]
	v_accvgpr_read_b32 v2, a32
	v_accvgpr_read_b32 v4, a34
	;; [unrolled: 1-line block ×4, first 2 shown]
	s_waitcnt lgkmcnt(8)
	v_mul_f64 v[0:1], v[4:5], v[192:193]
	v_mul_f64 v[26:27], v[4:5], v[194:195]
	v_fma_f64 v[32:33], v[2:3], v[194:195], -v[0:1]
	v_mul_f64 v[0:1], v[62:63], v[184:185]
	v_fmac_f64_e32 v[26:27], v[2:3], v[192:193]
	v_fma_f64 v[34:35], v[60:61], v[186:187], -v[0:1]
	s_waitcnt lgkmcnt(4)
	v_mul_f64 v[0:1], v[58:59], v[188:189]
	v_accvgpr_read_b32 v2, a48
	v_fma_f64 v[42:43], v[56:57], v[190:191], -v[0:1]
	v_mul_f64 v[0:1], v[54:55], v[176:177]
	v_accvgpr_read_b32 v4, a50
	v_accvgpr_read_b32 v5, a51
	v_mul_f64 v[44:45], v[54:55], v[178:179]
	v_fma_f64 v[46:47], v[52:53], v[178:179], -v[0:1]
	v_accvgpr_read_b32 v3, a49
	v_mul_f64 v[50:51], v[4:5], v[182:183]
	v_mul_f64 v[0:1], v[4:5], v[180:181]
	v_fmac_f64_e32 v[44:45], v[52:53], v[176:177]
	v_fmac_f64_e32 v[50:51], v[2:3], v[180:181]
	v_fma_f64 v[52:53], v[2:3], v[182:183], -v[0:1]
	v_accvgpr_read_b32 v2, a40
	v_accvgpr_read_b32 v4, a42
	;; [unrolled: 1-line block ×3, first 2 shown]
	v_mul_f64 v[40:41], v[58:59], v[190:191]
	v_accvgpr_read_b32 v3, a41
	v_mul_f64 v[54:55], v[4:5], v[170:171]
	v_mul_f64 v[0:1], v[4:5], v[168:169]
	v_fmac_f64_e32 v[40:41], v[56:57], v[188:189]
	v_fmac_f64_e32 v[54:55], v[2:3], v[168:169]
	v_fma_f64 v[56:57], v[2:3], v[170:171], -v[0:1]
	v_accvgpr_read_b32 v2, a44
	v_accvgpr_read_b32 v4, a46
	;; [unrolled: 1-line block ×3, first 2 shown]
	v_mul_f64 v[30:31], v[62:63], v[186:187]
	v_accvgpr_read_b32 v3, a45
	s_waitcnt lgkmcnt(2)
	v_mul_f64 v[58:59], v[4:5], v[174:175]
	v_mul_f64 v[0:1], v[4:5], v[172:173]
	v_fmac_f64_e32 v[30:31], v[60:61], v[184:185]
	v_fmac_f64_e32 v[58:59], v[2:3], v[172:173]
	v_fma_f64 v[60:61], v[2:3], v[174:175], -v[0:1]
	v_accvgpr_read_b32 v2, a36
	v_accvgpr_read_b32 v4, a38
	;; [unrolled: 1-line block ×4, first 2 shown]
	v_mul_f64 v[62:63], v[4:5], v[166:167]
	v_mul_f64 v[0:1], v[4:5], v[164:165]
	v_fmac_f64_e32 v[62:63], v[2:3], v[164:165]
	v_fma_f64 v[76:77], v[2:3], v[166:167], -v[0:1]
	v_accvgpr_read_b32 v2, a64
	v_accvgpr_read_b32 v4, a66
	;; [unrolled: 1-line block ×3, first 2 shown]
	v_mul_f64 v[8:9], v[4:5], v[162:163]
	v_mul_f64 v[0:1], v[4:5], v[160:161]
	v_accvgpr_read_b32 v4, a60
	v_accvgpr_read_b32 v3, a65
	;; [unrolled: 1-line block ×5, first 2 shown]
	v_fmac_f64_e32 v[8:9], v[2:3], v[160:161]
	v_fma_f64 v[0:1], v[2:3], v[162:163], -v[0:1]
	v_accvgpr_read_b32 v5, a61
	v_mul_f64 v[10:11], v[6:7], v[158:159]
	v_mul_f64 v[2:3], v[6:7], v[156:157]
	v_accvgpr_read_b32 v16, a58
	v_accvgpr_read_b32 v17, a59
	v_fmac_f64_e32 v[10:11], v[4:5], v[156:157]
	v_fma_f64 v[2:3], v[4:5], v[158:159], -v[2:3]
	s_waitcnt lgkmcnt(1)
	v_mul_f64 v[12:13], v[16:17], v[154:155]
	v_mul_f64 v[4:5], v[16:17], v[152:153]
	v_accvgpr_read_b32 v16, a52
	v_accvgpr_read_b32 v15, a57
	;; [unrolled: 1-line block ×4, first 2 shown]
	v_fmac_f64_e32 v[12:13], v[14:15], v[152:153]
	v_fma_f64 v[4:5], v[14:15], v[154:155], -v[4:5]
	v_accvgpr_read_b32 v17, a53
	s_waitcnt lgkmcnt(0)
	v_mul_f64 v[14:15], v[18:19], v[150:151]
	v_mul_f64 v[6:7], v[18:19], v[148:149]
	v_fmac_f64_e32 v[14:15], v[16:17], v[148:149]
	v_fma_f64 v[6:7], v[16:17], v[150:151], -v[6:7]
	v_add_f64 v[16:17], v[144:145], v[26:27]
	v_add_f64 v[16:17], v[16:17], v[30:31]
	v_add_f64 v[16:17], v[16:17], v[40:41]
	v_add_f64 v[20:21], v[16:17], v[44:45]
	v_add_f64 v[16:17], v[30:31], v[40:41]
	s_mov_b32 s2, 0x134454ff
	v_fma_f64 v[16:17], -0.5, v[16:17], v[144:145]
	v_add_f64 v[18:19], v[32:33], -v[46:47]
	s_mov_b32 s3, 0xbfee6f0e
	s_mov_b32 s10, 0x4755a5e
	;; [unrolled: 1-line block ×4, first 2 shown]
	v_fma_f64 v[24:25], s[2:3], v[18:19], v[16:17]
	v_add_f64 v[22:23], v[34:35], -v[42:43]
	s_mov_b32 s11, 0xbfe2cf23
	v_add_f64 v[28:29], v[26:27], -v[30:31]
	v_add_f64 v[48:49], v[44:45], -v[40:41]
	s_mov_b32 s14, 0x372fe950
	v_fmac_f64_e32 v[16:17], s[16:17], v[18:19]
	s_mov_b32 s19, 0x3fe2cf23
	s_mov_b32 s18, s10
	v_fmac_f64_e32 v[24:25], s[10:11], v[22:23]
	v_add_f64 v[28:29], v[28:29], v[48:49]
	s_mov_b32 s15, 0x3fd3c6ef
	v_fmac_f64_e32 v[16:17], s[18:19], v[22:23]
	v_fmac_f64_e32 v[24:25], s[14:15], v[28:29]
	;; [unrolled: 1-line block ×3, first 2 shown]
	v_add_f64 v[28:29], v[26:27], v[44:45]
	v_fmac_f64_e32 v[144:145], -0.5, v[28:29]
	v_fma_f64 v[28:29], s[16:17], v[22:23], v[144:145]
	v_fmac_f64_e32 v[144:145], s[2:3], v[22:23]
	v_fmac_f64_e32 v[28:29], s[10:11], v[18:19]
	;; [unrolled: 1-line block ×3, first 2 shown]
	v_add_f64 v[18:19], v[146:147], v[32:33]
	v_add_f64 v[18:19], v[18:19], v[34:35]
	;; [unrolled: 1-line block ×3, first 2 shown]
	v_add_f64 v[48:49], v[30:31], -v[26:27]
	v_add_f64 v[78:79], v[40:41], -v[44:45]
	v_add_f64 v[22:23], v[18:19], v[46:47]
	v_add_f64 v[18:19], v[34:35], v[42:43]
	;; [unrolled: 1-line block ×3, first 2 shown]
	v_fma_f64 v[18:19], -0.5, v[18:19], v[146:147]
	v_add_f64 v[44:45], v[26:27], -v[44:45]
	v_fmac_f64_e32 v[28:29], s[14:15], v[48:49]
	v_fmac_f64_e32 v[144:145], s[14:15], v[48:49]
	v_fma_f64 v[26:27], s[16:17], v[44:45], v[18:19]
	v_add_f64 v[40:41], v[30:31], -v[40:41]
	v_add_f64 v[30:31], v[32:33], -v[34:35]
	v_add_f64 v[48:49], v[46:47], -v[42:43]
	v_fmac_f64_e32 v[18:19], s[2:3], v[44:45]
	v_fmac_f64_e32 v[26:27], s[18:19], v[40:41]
	v_add_f64 v[30:31], v[30:31], v[48:49]
	v_fmac_f64_e32 v[18:19], s[10:11], v[40:41]
	v_fmac_f64_e32 v[26:27], s[14:15], v[30:31]
	;; [unrolled: 1-line block ×3, first 2 shown]
	v_add_f64 v[30:31], v[32:33], v[46:47]
	v_add_f64 v[32:33], v[34:35], -v[32:33]
	v_add_f64 v[34:35], v[42:43], -v[46:47]
	v_fmac_f64_e32 v[146:147], -0.5, v[30:31]
	v_add_f64 v[32:33], v[32:33], v[34:35]
	v_add_f64 v[34:35], v[54:55], v[58:59]
	v_fma_f64 v[30:31], s[2:3], v[40:41], v[146:147]
	v_fmac_f64_e32 v[146:147], s[16:17], v[40:41]
	v_fma_f64 v[40:41], -0.5, v[34:35], v[140:141]
	v_add_f64 v[34:35], v[52:53], -v[76:77]
	v_fmac_f64_e32 v[30:31], s[18:19], v[44:45]
	v_fmac_f64_e32 v[146:147], s[10:11], v[44:45]
	v_fma_f64 v[44:45], s[2:3], v[34:35], v[40:41]
	v_add_f64 v[42:43], v[56:57], -v[60:61]
	v_add_f64 v[46:47], v[50:51], -v[54:55]
	v_add_f64 v[48:49], v[62:63], -v[58:59]
	v_fmac_f64_e32 v[40:41], s[16:17], v[34:35]
	v_fmac_f64_e32 v[44:45], s[10:11], v[42:43]
	v_add_f64 v[46:47], v[46:47], v[48:49]
	v_fmac_f64_e32 v[40:41], s[18:19], v[42:43]
	v_fmac_f64_e32 v[30:31], s[14:15], v[32:33]
	;; [unrolled: 1-line block ×3, first 2 shown]
	v_add_f64 v[32:33], v[140:141], v[50:51]
	v_fmac_f64_e32 v[44:45], s[14:15], v[46:47]
	v_fmac_f64_e32 v[40:41], s[14:15], v[46:47]
	v_add_f64 v[46:47], v[50:51], v[62:63]
	v_add_f64 v[32:33], v[32:33], v[54:55]
	v_fmac_f64_e32 v[140:141], -0.5, v[46:47]
	v_add_f64 v[32:33], v[32:33], v[58:59]
	v_fma_f64 v[48:49], s[16:17], v[42:43], v[140:141]
	v_add_f64 v[46:47], v[54:55], -v[50:51]
	v_add_f64 v[78:79], v[58:59], -v[62:63]
	v_fmac_f64_e32 v[140:141], s[2:3], v[42:43]
	v_add_f64 v[42:43], v[56:57], v[60:61]
	v_add_f64 v[32:33], v[32:33], v[62:63]
	v_fmac_f64_e32 v[48:49], s[10:11], v[34:35]
	v_add_f64 v[46:47], v[46:47], v[78:79]
	v_fmac_f64_e32 v[140:141], s[18:19], v[34:35]
	v_fma_f64 v[42:43], -0.5, v[42:43], v[142:143]
	v_add_f64 v[62:63], v[50:51], -v[62:63]
	v_fmac_f64_e32 v[48:49], s[14:15], v[46:47]
	v_fmac_f64_e32 v[140:141], s[14:15], v[46:47]
	v_fma_f64 v[46:47], s[16:17], v[62:63], v[42:43]
	v_add_f64 v[54:55], v[54:55], -v[58:59]
	v_add_f64 v[50:51], v[52:53], -v[56:57]
	;; [unrolled: 1-line block ×3, first 2 shown]
	v_fmac_f64_e32 v[42:43], s[2:3], v[62:63]
	v_fmac_f64_e32 v[46:47], s[18:19], v[54:55]
	v_add_f64 v[50:51], v[50:51], v[58:59]
	v_fmac_f64_e32 v[42:43], s[10:11], v[54:55]
	v_fmac_f64_e32 v[46:47], s[14:15], v[50:51]
	;; [unrolled: 1-line block ×3, first 2 shown]
	v_add_f64 v[50:51], v[52:53], v[76:77]
	v_add_f64 v[34:35], v[142:143], v[52:53]
	v_fmac_f64_e32 v[142:143], -0.5, v[50:51]
	v_add_f64 v[34:35], v[34:35], v[56:57]
	v_fma_f64 v[50:51], s[2:3], v[54:55], v[142:143]
	v_add_f64 v[52:53], v[56:57], -v[52:53]
	v_add_f64 v[56:57], v[60:61], -v[76:77]
	v_fmac_f64_e32 v[142:143], s[16:17], v[54:55]
	v_add_f64 v[54:55], v[10:11], v[12:13]
	v_add_f64 v[34:35], v[34:35], v[60:61]
	;; [unrolled: 1-line block ×3, first 2 shown]
	v_fma_f64 v[56:57], -0.5, v[54:55], v[136:137]
	v_add_f64 v[54:55], v[0:1], -v[6:7]
	v_add_f64 v[34:35], v[34:35], v[76:77]
	v_fmac_f64_e32 v[50:51], s[18:19], v[62:63]
	v_fmac_f64_e32 v[142:143], s[10:11], v[62:63]
	v_fma_f64 v[60:61], s[2:3], v[54:55], v[56:57]
	v_add_f64 v[58:59], v[2:3], -v[4:5]
	v_add_f64 v[62:63], v[8:9], -v[10:11]
	;; [unrolled: 1-line block ×3, first 2 shown]
	v_fmac_f64_e32 v[56:57], s[16:17], v[54:55]
	v_fmac_f64_e32 v[60:61], s[10:11], v[58:59]
	v_add_f64 v[62:63], v[62:63], v[76:77]
	v_fmac_f64_e32 v[56:57], s[18:19], v[58:59]
	v_fmac_f64_e32 v[60:61], s[14:15], v[62:63]
	;; [unrolled: 1-line block ×3, first 2 shown]
	v_add_f64 v[62:63], v[8:9], v[14:15]
	v_fmac_f64_e32 v[50:51], s[14:15], v[52:53]
	v_fmac_f64_e32 v[142:143], s[14:15], v[52:53]
	v_add_f64 v[52:53], v[136:137], v[8:9]
	v_fmac_f64_e32 v[136:137], -0.5, v[62:63]
	v_add_f64 v[52:53], v[52:53], v[10:11]
	v_fma_f64 v[148:149], s[16:17], v[58:59], v[136:137]
	v_add_f64 v[62:63], v[10:11], -v[8:9]
	v_add_f64 v[76:77], v[12:13], -v[14:15]
	v_fmac_f64_e32 v[136:137], s[2:3], v[58:59]
	v_add_f64 v[58:59], v[2:3], v[4:5]
	v_add_f64 v[52:53], v[52:53], v[12:13]
	v_fmac_f64_e32 v[148:149], s[10:11], v[54:55]
	v_add_f64 v[62:63], v[62:63], v[76:77]
	v_fmac_f64_e32 v[136:137], s[18:19], v[54:55]
	v_fma_f64 v[58:59], -0.5, v[58:59], v[138:139]
	v_add_f64 v[8:9], v[8:9], -v[14:15]
	v_add_f64 v[52:53], v[52:53], v[14:15]
	v_fmac_f64_e32 v[148:149], s[14:15], v[62:63]
	v_fmac_f64_e32 v[136:137], s[14:15], v[62:63]
	v_fma_f64 v[62:63], s[16:17], v[8:9], v[58:59]
	v_add_f64 v[10:11], v[10:11], -v[12:13]
	v_add_f64 v[12:13], v[0:1], -v[2:3]
	;; [unrolled: 1-line block ×3, first 2 shown]
	v_fmac_f64_e32 v[58:59], s[2:3], v[8:9]
	v_fmac_f64_e32 v[62:63], s[18:19], v[10:11]
	v_add_f64 v[12:13], v[12:13], v[14:15]
	v_fmac_f64_e32 v[58:59], s[10:11], v[10:11]
	v_fmac_f64_e32 v[62:63], s[14:15], v[12:13]
	;; [unrolled: 1-line block ×3, first 2 shown]
	v_add_f64 v[12:13], v[0:1], v[6:7]
	v_add_f64 v[54:55], v[138:139], v[0:1]
	v_fmac_f64_e32 v[138:139], -0.5, v[12:13]
	v_add_f64 v[54:55], v[54:55], v[2:3]
	v_fma_f64 v[150:151], s[2:3], v[10:11], v[138:139]
	v_add_f64 v[0:1], v[2:3], -v[0:1]
	v_add_f64 v[2:3], v[4:5], -v[6:7]
	v_fmac_f64_e32 v[138:139], s[16:17], v[10:11]
	v_add_f64 v[54:55], v[54:55], v[4:5]
	v_fmac_f64_e32 v[150:151], s[18:19], v[8:9]
	v_add_f64 v[0:1], v[0:1], v[2:3]
	;; [unrolled: 2-line block ×3, first 2 shown]
	v_fmac_f64_e32 v[150:151], s[14:15], v[0:1]
	v_fmac_f64_e32 v[138:139], s[14:15], v[0:1]
	s_barrier
	ds_write_b128 v243, v[20:23]
	ds_write_b128 v243, v[24:27] offset:272
	ds_write_b128 v243, v[28:31] offset:544
	ds_write_b128 v243, v[144:147] offset:816
	ds_write_b128 v243, v[16:19] offset:1088
	ds_write_b128 v37, v[32:35]
	ds_write_b128 v37, v[44:47] offset:272
	ds_write_b128 v37, v[48:51] offset:544
	ds_write_b128 v37, v[140:143] offset:816
	ds_write_b128 v37, v[40:43] offset:1088
	;; [unrolled: 5-line block ×3, first 2 shown]
	s_mov_b64 s[20:21], exec
	s_and_b64 s[0:1], s[20:21], s[0:1]
	v_accvgpr_read_b32 v32, a1
	s_mov_b64 exec, s[0:1]
	s_cbranch_execz .LBB0_21
; %bb.20:
	v_accvgpr_read_b32 v14, a16
	v_accvgpr_read_b32 v21, a15
	;; [unrolled: 1-line block ×7, first 2 shown]
	v_mul_f64 v[0:1], v[16:17], v[68:69]
	v_accvgpr_read_b32 v26, a10
	v_accvgpr_read_b32 v19, a13
	;; [unrolled: 1-line block ×3, first 2 shown]
	v_mul_f64 v[6:7], v[20:21], v[72:73]
	v_fma_f64 v[4:5], v[14:15], v[70:71], -v[0:1]
	v_accvgpr_read_b32 v25, a9
	v_accvgpr_read_b32 v24, a8
	v_mul_f64 v[0:1], v[26:27], v[208:209]
	v_fma_f64 v[8:9], v[18:19], v[74:75], -v[6:7]
	v_mul_f64 v[6:7], v[254:255], v[64:65]
	v_fma_f64 v[0:1], v[24:25], v[210:211], -v[0:1]
	v_fma_f64 v[12:13], v[252:253], v[66:67], -v[6:7]
	v_add_f64 v[2:3], v[4:5], -v[0:1]
	v_add_f64 v[6:7], v[8:9], -v[12:13]
	v_mul_f64 v[16:17], v[16:17], v[70:71]
	v_mul_f64 v[20:21], v[20:21], v[74:75]
	;; [unrolled: 1-line block ×3, first 2 shown]
	v_add_f64 v[10:11], v[2:3], v[6:7]
	v_fmac_f64_e32 v[16:17], v[14:15], v[68:69]
	v_fmac_f64_e32 v[20:21], v[18:19], v[72:73]
	v_add_f64 v[2:3], v[0:1], v[12:13]
	v_fmac_f64_e32 v[22:23], v[24:25], v[208:209]
	v_mul_f64 v[24:25], v[254:255], v[66:67]
	v_add_f64 v[18:19], v[16:17], -v[20:21]
	v_fma_f64 v[2:3], -0.5, v[2:3], v[206:207]
	v_fmac_f64_e32 v[24:25], v[252:253], v[64:65]
	v_fma_f64 v[6:7], s[16:17], v[18:19], v[2:3]
	v_add_f64 v[26:27], v[22:23], -v[24:25]
	v_fmac_f64_e32 v[2:3], s[2:3], v[18:19]
	v_fmac_f64_e32 v[6:7], s[10:11], v[26:27]
	;; [unrolled: 1-line block ×5, first 2 shown]
	v_add_f64 v[10:11], v[0:1], -v[4:5]
	v_add_f64 v[14:15], v[12:13], -v[8:9]
	v_add_f64 v[28:29], v[10:11], v[14:15]
	v_add_f64 v[10:11], v[4:5], v[8:9]
	v_fma_f64 v[10:11], -0.5, v[10:11], v[206:207]
	v_fma_f64 v[14:15], s[2:3], v[26:27], v[10:11]
	v_fmac_f64_e32 v[10:11], s[16:17], v[26:27]
	v_fmac_f64_e32 v[14:15], s[10:11], v[18:19]
	;; [unrolled: 1-line block ×5, first 2 shown]
	v_add_f64 v[26:27], v[16:17], -v[22:23]
	v_add_f64 v[28:29], v[20:21], -v[24:25]
	v_add_f64 v[18:19], v[206:207], v[0:1]
	v_add_f64 v[26:27], v[26:27], v[28:29]
	v_add_f64 v[28:29], v[0:1], -v[12:13]
	v_add_f64 v[0:1], v[22:23], v[24:25]
	v_add_f64 v[18:19], v[18:19], v[4:5]
	v_fma_f64 v[0:1], -0.5, v[0:1], v[204:205]
	v_add_f64 v[30:31], v[4:5], -v[8:9]
	v_add_f64 v[18:19], v[18:19], v[8:9]
	v_fma_f64 v[4:5], s[2:3], v[30:31], v[0:1]
	v_fmac_f64_e32 v[0:1], s[16:17], v[30:31]
	v_add_f64 v[18:19], v[18:19], v[12:13]
	v_fmac_f64_e32 v[4:5], s[18:19], v[28:29]
	v_fmac_f64_e32 v[0:1], s[10:11], v[28:29]
	v_add_f64 v[8:9], v[22:23], -v[16:17]
	v_add_f64 v[12:13], v[24:25], -v[20:21]
	v_fmac_f64_e32 v[4:5], s[14:15], v[26:27]
	v_fmac_f64_e32 v[0:1], s[14:15], v[26:27]
	v_add_f64 v[26:27], v[8:9], v[12:13]
	v_add_f64 v[8:9], v[16:17], v[20:21]
	;; [unrolled: 1-line block ×3, first 2 shown]
	v_fma_f64 v[8:9], -0.5, v[8:9], v[204:205]
	v_add_f64 v[16:17], v[22:23], v[16:17]
	v_fma_f64 v[12:13], s[16:17], v[28:29], v[8:9]
	v_fmac_f64_e32 v[8:9], s[2:3], v[28:29]
	v_add_f64 v[16:17], v[16:17], v[20:21]
	v_fmac_f64_e32 v[12:13], s[18:19], v[30:31]
	v_fmac_f64_e32 v[8:9], s[10:11], v[30:31]
	v_add_f64 v[16:17], v[16:17], v[24:25]
	v_lshl_add_u32 v20, v242, 4, v32
	v_fmac_f64_e32 v[12:13], s[14:15], v[26:27]
	v_fmac_f64_e32 v[8:9], s[14:15], v[26:27]
	ds_write_b128 v20, v[16:19] offset:20400
	ds_write_b128 v20, v[8:11] offset:20672
	;; [unrolled: 1-line block ×5, first 2 shown]
.LBB0_21:
	s_or_b64 exec, exec, s[20:21]
	s_waitcnt lgkmcnt(0)
	s_barrier
	ds_read_b128 v[0:3], v36
	ds_read_b128 v[4:7], v36 offset:1360
	ds_read_b128 v[8:11], v36 offset:2720
	;; [unrolled: 1-line block ×15, first 2 shown]
	s_waitcnt lgkmcnt(14)
	v_mul_f64 v[36:37], v[102:103], v[6:7]
	v_fmac_f64_e32 v[36:37], v[100:101], v[4:5]
	v_mul_f64 v[4:5], v[102:103], v[4:5]
	v_fma_f64 v[4:5], v[100:101], v[6:7], -v[4:5]
	s_waitcnt lgkmcnt(13)
	v_mul_f64 v[6:7], v[86:87], v[10:11]
	v_accvgpr_read_b32 v68, a114
	v_fmac_f64_e32 v[6:7], v[84:85], v[8:9]
	v_mul_f64 v[8:9], v[86:87], v[8:9]
	v_accvgpr_read_b32 v70, a116
	v_accvgpr_read_b32 v71, a117
	v_fma_f64 v[8:9], v[84:85], v[10:11], -v[8:9]
	v_accvgpr_read_b32 v69, a115
	s_waitcnt lgkmcnt(12)
	v_mul_f64 v[10:11], v[70:71], v[14:15]
	v_fmac_f64_e32 v[10:11], v[68:69], v[12:13]
	v_mul_f64 v[12:13], v[70:71], v[12:13]
	v_fma_f64 v[12:13], v[68:69], v[14:15], -v[12:13]
	v_accvgpr_read_b32 v68, a68
	v_accvgpr_read_b32 v70, a70
	;; [unrolled: 1-line block ×4, first 2 shown]
	s_waitcnt lgkmcnt(11)
	v_mul_f64 v[14:15], v[70:71], v[18:19]
	v_fmac_f64_e32 v[14:15], v[68:69], v[16:17]
	v_mul_f64 v[16:17], v[70:71], v[16:17]
	v_fma_f64 v[16:17], v[68:69], v[18:19], -v[16:17]
	s_waitcnt lgkmcnt(10)
	v_mul_f64 v[18:19], v[118:119], v[22:23]
	v_fmac_f64_e32 v[18:19], v[116:117], v[20:21]
	v_mul_f64 v[20:21], v[118:119], v[20:21]
	v_fma_f64 v[20:21], v[116:117], v[22:23], -v[20:21]
	;; [unrolled: 5-line block ×12, first 2 shown]
	v_add_f64 v[30:31], v[0:1], -v[30:31]
	v_add_f64 v[32:33], v[2:3], -v[32:33]
	;; [unrolled: 1-line block ×12, first 2 shown]
	s_mov_b32 s0, 0x667f3bcd
	v_fma_f64 v[0:1], v[0:1], 2.0, -v[30:31]
	v_fma_f64 v[14:15], v[14:15], 2.0, -v[50:51]
	;; [unrolled: 1-line block ×6, first 2 shown]
	v_add_f64 v[40:41], v[4:5], -v[40:41]
	v_fma_f64 v[36:37], v[36:37], 2.0, -v[34:35]
	v_add_f64 v[56:57], v[20:21], -v[56:57]
	v_fma_f64 v[18:19], v[18:19], 2.0, -v[54:55]
	;; [unrolled: 2-line block ×4, first 2 shown]
	v_add_f64 v[52:53], v[30:31], v[52:53]
	v_add_f64 v[50:51], v[32:33], -v[50:51]
	v_add_f64 v[60:61], v[42:43], v[60:61]
	v_add_f64 v[58:59], v[44:45], -v[58:59]
	s_mov_b32 s1, 0xbfe6a09e
	s_mov_b32 s3, 0x3fe6a09e
	;; [unrolled: 1-line block ×3, first 2 shown]
	v_fma_f64 v[2:3], v[2:3], 2.0, -v[32:33]
	v_fma_f64 v[8:9], v[8:9], 2.0, -v[44:45]
	;; [unrolled: 1-line block ×6, first 2 shown]
	v_add_f64 v[14:15], v[0:1], -v[14:15]
	v_fma_f64 v[30:31], v[30:31], 2.0, -v[52:53]
	v_add_f64 v[22:23], v[6:7], -v[22:23]
	v_fma_f64 v[42:43], v[42:43], 2.0, -v[60:61]
	v_add_f64 v[18:19], v[36:37], -v[18:19]
	v_add_f64 v[26:27], v[10:11], -v[26:27]
	v_fma_f64 v[80:81], s[2:3], v[58:59], v[50:51]
	v_add_f64 v[16:17], v[2:3], -v[16:17]
	v_fma_f64 v[0:1], v[0:1], 2.0, -v[14:15]
	v_fma_f64 v[32:33], v[32:33], 2.0, -v[50:51]
	v_add_f64 v[24:25], v[8:9], -v[24:25]
	v_fma_f64 v[6:7], v[6:7], 2.0, -v[22:23]
	v_fma_f64 v[44:45], v[44:45], 2.0, -v[58:59]
	v_add_f64 v[20:21], v[4:5], -v[20:21]
	v_fma_f64 v[36:37], v[36:37], 2.0, -v[18:19]
	v_add_f64 v[56:57], v[34:35], v[56:57]
	v_add_f64 v[54:55], v[40:41], -v[54:55]
	v_add_f64 v[28:29], v[12:13], -v[28:29]
	v_fma_f64 v[10:11], v[10:11], 2.0, -v[26:27]
	v_add_f64 v[64:65], v[46:47], v[64:65]
	v_add_f64 v[62:63], v[48:49], -v[62:63]
	v_fma_f64 v[70:71], s[0:1], v[42:43], v[30:31]
	v_fma_f64 v[78:79], s[2:3], v[60:61], v[52:53]
	v_fmac_f64_e32 v[80:81], s[0:1], v[60:61]
	v_fma_f64 v[2:3], v[2:3], 2.0, -v[16:17]
	v_fma_f64 v[8:9], v[8:9], 2.0, -v[24:25]
	;; [unrolled: 1-line block ×8, first 2 shown]
	v_add_f64 v[66:67], v[0:1], -v[6:7]
	v_fma_f64 v[72:73], s[0:1], v[44:45], v[32:33]
	v_fmac_f64_e32 v[70:71], s[2:3], v[44:45]
	v_fmac_f64_e32 v[78:79], s[2:3], v[58:59]
	v_fma_f64 v[44:45], v[50:51], 2.0, -v[80:81]
	v_add_f64 v[50:51], v[36:37], -v[10:11]
	v_add_f64 v[68:69], v[2:3], -v[8:9]
	v_fma_f64 v[6:7], v[0:1], 2.0, -v[66:67]
	v_fmac_f64_e32 v[72:73], s[0:1], v[42:43]
	v_add_f64 v[76:77], v[16:17], -v[22:23]
	v_fma_f64 v[42:43], v[52:53], 2.0, -v[78:79]
	v_add_f64 v[52:53], v[4:5], -v[12:13]
	v_fma_f64 v[0:1], v[36:37], 2.0, -v[50:51]
	v_fma_f64 v[36:37], s[0:1], v[46:47], v[34:35]
	v_fma_f64 v[58:59], s[0:1], v[48:49], v[40:41]
	v_add_f64 v[82:83], v[20:21], -v[26:27]
	v_fma_f64 v[86:87], s[2:3], v[62:63], v[54:55]
	v_fma_f64 v[8:9], v[2:3], 2.0, -v[68:69]
	v_add_f64 v[74:75], v[14:15], v[24:25]
	v_fma_f64 v[24:25], v[16:17], 2.0, -v[76:77]
	v_fma_f64 v[2:3], v[4:5], 2.0, -v[52:53]
	v_fmac_f64_e32 v[36:37], s[2:3], v[48:49]
	v_fmac_f64_e32 v[58:59], s[0:1], v[46:47]
	v_add_f64 v[60:61], v[18:19], v[28:29]
	v_fma_f64 v[20:21], v[20:21], 2.0, -v[82:83]
	v_fma_f64 v[84:85], s[2:3], v[64:65], v[56:57]
	v_fmac_f64_e32 v[86:87], s[0:1], v[64:65]
	s_mov_b32 s14, 0xcf328d46
	s_mov_b32 s10, 0xa6aea964
	v_fma_f64 v[30:31], v[30:31], 2.0, -v[70:71]
	v_fma_f64 v[32:33], v[32:33], 2.0, -v[72:73]
	;; [unrolled: 1-line block ×6, first 2 shown]
	v_fmac_f64_e32 v[84:85], s[2:3], v[62:63]
	v_fma_f64 v[34:35], v[54:55], 2.0, -v[86:87]
	v_add_f64 v[0:1], v[6:7], -v[0:1]
	v_add_f64 v[2:3], v[8:9], -v[2:3]
	s_mov_b32 s15, 0xbfed906b
	s_mov_b32 s11, 0x3fd87de2
	;; [unrolled: 1-line block ×4, first 2 shown]
	v_fma_f64 v[18:19], s[0:1], v[20:21], v[24:25]
	v_fma_f64 v[28:29], v[56:57], 2.0, -v[84:85]
	v_fma_f64 v[4:5], v[6:7], 2.0, -v[0:1]
	;; [unrolled: 1-line block ×3, first 2 shown]
	v_fma_f64 v[8:9], s[14:15], v[12:13], v[30:31]
	v_fma_f64 v[10:11], s[14:15], v[14:15], v[32:33]
	v_fma_f64 v[16:17], s[0:1], v[26:27], v[22:23]
	v_fmac_f64_e32 v[18:19], s[0:1], v[26:27]
	v_fma_f64 v[26:27], s[16:17], v[34:35], v[44:45]
	v_fmac_f64_e32 v[8:9], s[10:11], v[14:15]
	v_fmac_f64_e32 v[10:11], s[16:17], v[12:13]
	;; [unrolled: 1-line block ×3, first 2 shown]
	s_mov_b32 s19, 0x3fed906b
	s_mov_b32 s18, s14
	v_fmac_f64_e32 v[26:27], s[14:15], v[28:29]
	v_fma_f64 v[54:55], s[2:3], v[82:83], v[76:77]
	v_fma_f64 v[12:13], v[30:31], 2.0, -v[8:9]
	v_fma_f64 v[14:15], v[32:33], 2.0, -v[10:11]
	;; [unrolled: 1-line block ×4, first 2 shown]
	v_fma_f64 v[24:25], s[16:17], v[28:29], v[42:43]
	v_fma_f64 v[30:31], v[44:45], 2.0, -v[26:27]
	v_add_f64 v[32:33], v[66:67], v[52:53]
	v_fma_f64 v[44:45], s[10:11], v[36:37], v[70:71]
	v_fma_f64 v[46:47], s[10:11], v[58:59], v[72:73]
	v_fma_f64 v[52:53], s[2:3], v[60:61], v[74:75]
	v_fmac_f64_e32 v[54:55], s[0:1], v[60:61]
	v_fma_f64 v[60:61], s[18:19], v[84:85], v[78:79]
	v_fma_f64 v[62:63], s[18:19], v[86:87], v[80:81]
	v_fmac_f64_e32 v[24:25], s[18:19], v[34:35]
	v_add_f64 v[34:35], v[68:69], -v[50:51]
	v_fmac_f64_e32 v[44:45], s[18:19], v[58:59]
	v_fmac_f64_e32 v[46:47], s[14:15], v[36:37]
	;; [unrolled: 1-line block ×5, first 2 shown]
	v_fma_f64 v[28:29], v[42:43], 2.0, -v[24:25]
	v_fma_f64 v[40:41], v[66:67], 2.0, -v[32:33]
	;; [unrolled: 1-line block ×9, first 2 shown]
	ds_write_b128 v38, v[4:7]
	ds_write_b128 v38, v[12:15] offset:1360
	ds_write_b128 v38, v[20:23] offset:2720
	;; [unrolled: 1-line block ×15, first 2 shown]
	s_waitcnt lgkmcnt(0)
	s_barrier
	s_and_b64 exec, exec, vcc
	s_cbranch_execz .LBB0_23
; %bb.22:
	global_load_dwordx4 v[2:5], v248, s[8:9]
	v_mad_u64_u32 v[14:15], s[0:1], s6, v250, 0
	v_mad_u64_u32 v[16:17], s[2:3], s4, v246, 0
	ds_read_b128 v[6:9], v38
	ds_read_b128 v[10:13], v38 offset:1280
	v_mov_b32_e32 v18, v15
	v_mov_b32_e32 v20, v17
	v_mad_u64_u32 v[18:19], s[2:3], s7, v250, v[18:19]
	v_mov_b32_e32 v0, s12
	v_mov_b32_e32 v1, s13
	v_mad_u64_u32 v[20:21], s[2:3], s5, v246, v[20:21]
	v_mov_b32_e32 v15, v18
	v_mov_b32_e32 v17, v20
	v_lshl_add_u64 v[0:1], v[14:15], 4, v[0:1]
	s_mov_b32 s0, 0x18181818
	v_lshl_add_u64 v[14:15], v[16:17], 4, v[0:1]
	s_mov_b32 s1, 0x3f481818
	s_mul_i32 s2, s5, 0x500
	v_mov_b32_e32 v249, 0
	s_movk_i32 s3, 0x1000
	s_waitcnt vmcnt(0) lgkmcnt(1)
	v_mul_f64 v[16:17], v[8:9], v[4:5]
	v_mul_f64 v[4:5], v[6:7], v[4:5]
	v_fmac_f64_e32 v[16:17], v[6:7], v[2:3]
	v_fma_f64 v[4:5], v[2:3], v[8:9], -v[4:5]
	v_mul_f64 v[2:3], v[16:17], s[0:1]
	v_mul_f64 v[4:5], v[4:5], s[0:1]
	global_store_dwordx4 v[14:15], v[2:5], off
	global_load_dwordx4 v[6:9], v248, s[8:9] offset:1280
	s_nop 0
	v_mov_b32_e32 v4, 0x500
	v_mad_u64_u32 v[2:3], s[6:7], s4, v4, v[14:15]
	v_add_u32_e32 v3, s2, v3
	v_mad_u64_u32 v[18:19], s[6:7], s4, v4, v[2:3]
	v_add_u32_e32 v19, s2, v19
	v_or_b32_e32 v5, 0x280, v246
	s_waitcnt vmcnt(0) lgkmcnt(0)
	v_mul_f64 v[14:15], v[12:13], v[8:9]
	v_mul_f64 v[8:9], v[10:11], v[8:9]
	v_fmac_f64_e32 v[14:15], v[10:11], v[6:7]
	v_fma_f64 v[8:9], v[6:7], v[12:13], -v[8:9]
	v_mul_f64 v[6:7], v[14:15], s[0:1]
	v_mul_f64 v[8:9], v[8:9], s[0:1]
	global_store_dwordx4 v[2:3], v[6:9], off
	global_load_dwordx4 v[6:9], v248, s[8:9] offset:2560
	ds_read_b128 v[10:13], v38 offset:2560
	ds_read_b128 v[14:17], v38 offset:3840
	s_waitcnt vmcnt(0) lgkmcnt(1)
	v_mul_f64 v[2:3], v[12:13], v[8:9]
	v_mul_f64 v[8:9], v[10:11], v[8:9]
	v_fmac_f64_e32 v[2:3], v[10:11], v[6:7]
	v_fma_f64 v[8:9], v[6:7], v[12:13], -v[8:9]
	v_mul_f64 v[6:7], v[2:3], s[0:1]
	v_mul_f64 v[8:9], v[8:9], s[0:1]
	global_store_dwordx4 v[18:19], v[6:9], off
	global_load_dwordx4 v[6:9], v248, s[8:9] offset:3840
	v_lshl_add_u64 v[2:3], s[8:9], 0, v[248:249]
	v_mad_u64_u32 v[18:19], s[6:7], s4, v4, v[18:19]
	v_add_co_u32_e32 v20, vcc, s3, v2
	v_add_u32_e32 v19, s2, v19
	s_nop 0
	v_addc_co_u32_e32 v21, vcc, 0, v3, vcc
	s_movk_i32 s3, 0x2000
	s_waitcnt vmcnt(0) lgkmcnt(0)
	v_mul_f64 v[10:11], v[16:17], v[8:9]
	v_mul_f64 v[8:9], v[14:15], v[8:9]
	v_fmac_f64_e32 v[10:11], v[14:15], v[6:7]
	v_fma_f64 v[8:9], v[6:7], v[16:17], -v[8:9]
	v_mul_f64 v[6:7], v[10:11], s[0:1]
	v_mul_f64 v[8:9], v[8:9], s[0:1]
	global_store_dwordx4 v[18:19], v[6:9], off
	global_load_dwordx4 v[6:9], v[20:21], off offset:1024
	ds_read_b128 v[10:13], v38 offset:5120
	ds_read_b128 v[14:17], v38 offset:6400
	v_mad_u64_u32 v[18:19], s[6:7], s4, v4, v[18:19]
	v_add_u32_e32 v19, s2, v19
	s_waitcnt vmcnt(0) lgkmcnt(1)
	v_mul_f64 v[22:23], v[12:13], v[8:9]
	v_mul_f64 v[8:9], v[10:11], v[8:9]
	v_fmac_f64_e32 v[22:23], v[10:11], v[6:7]
	v_fma_f64 v[8:9], v[6:7], v[12:13], -v[8:9]
	v_mul_f64 v[6:7], v[22:23], s[0:1]
	v_mul_f64 v[8:9], v[8:9], s[0:1]
	global_store_dwordx4 v[18:19], v[6:9], off
	global_load_dwordx4 v[6:9], v[20:21], off offset:2304
	v_mad_u64_u32 v[18:19], s[6:7], s4, v4, v[18:19]
	v_add_u32_e32 v19, s2, v19
	s_waitcnt vmcnt(0) lgkmcnt(0)
	v_mul_f64 v[10:11], v[16:17], v[8:9]
	v_mul_f64 v[8:9], v[14:15], v[8:9]
	v_fmac_f64_e32 v[10:11], v[14:15], v[6:7]
	v_fma_f64 v[8:9], v[6:7], v[16:17], -v[8:9]
	v_mul_f64 v[6:7], v[10:11], s[0:1]
	v_mul_f64 v[8:9], v[8:9], s[0:1]
	global_store_dwordx4 v[18:19], v[6:9], off
	global_load_dwordx4 v[6:9], v[20:21], off offset:3584
	ds_read_b128 v[10:13], v38 offset:7680
	ds_read_b128 v[14:17], v38 offset:8960
	v_mad_u64_u32 v[18:19], s[6:7], s4, v4, v[18:19]
	v_add_co_u32_e32 v20, vcc, s3, v2
	v_add_u32_e32 v19, s2, v19
	s_nop 0
	v_addc_co_u32_e32 v21, vcc, 0, v3, vcc
	s_mul_i32 s3, s5, 0xa00
	s_waitcnt vmcnt(0) lgkmcnt(1)
	v_mul_f64 v[22:23], v[12:13], v[8:9]
	v_mul_f64 v[8:9], v[10:11], v[8:9]
	v_fmac_f64_e32 v[22:23], v[10:11], v[6:7]
	v_fma_f64 v[8:9], v[6:7], v[12:13], -v[8:9]
	v_mul_f64 v[6:7], v[22:23], s[0:1]
	v_mul_f64 v[8:9], v[8:9], s[0:1]
	global_store_dwordx4 v[18:19], v[6:9], off
	global_load_dwordx4 v[6:9], v[20:21], off offset:768
	v_mad_u64_u32 v[18:19], s[6:7], s4, v4, v[18:19]
	v_add_u32_e32 v19, s2, v19
	v_lshlrev_b32_e32 v12, 4, v5
	v_mad_u64_u32 v[22:23], s[6:7], s4, v5, 0
	v_mov_b32_e32 v24, v23
	v_mad_u64_u32 v[24:25], s[6:7], s5, v5, v[24:25]
	v_mov_b32_e32 v23, v24
	v_lshl_add_u64 v[22:23], v[22:23], 4, v[0:1]
	v_mov_b32_e32 v5, 0xa00
	s_movk_i32 s6, 0x3000
	s_waitcnt vmcnt(0) lgkmcnt(0)
	v_mul_f64 v[10:11], v[16:17], v[8:9]
	v_mul_f64 v[8:9], v[14:15], v[8:9]
	v_fmac_f64_e32 v[10:11], v[14:15], v[6:7]
	v_fma_f64 v[8:9], v[6:7], v[16:17], -v[8:9]
	v_mul_f64 v[6:7], v[10:11], s[0:1]
	v_mul_f64 v[8:9], v[8:9], s[0:1]
	global_store_dwordx4 v[18:19], v[6:9], off
	global_load_dwordx4 v[6:9], v12, s[8:9]
	ds_read_b128 v[10:13], v38 offset:10240
	ds_read_b128 v[14:17], v38 offset:11520
	s_waitcnt vmcnt(0) lgkmcnt(1)
	v_mul_f64 v[24:25], v[12:13], v[8:9]
	v_mul_f64 v[8:9], v[10:11], v[8:9]
	v_fmac_f64_e32 v[24:25], v[10:11], v[6:7]
	v_fma_f64 v[8:9], v[6:7], v[12:13], -v[8:9]
	v_mul_f64 v[6:7], v[24:25], s[0:1]
	v_mul_f64 v[8:9], v[8:9], s[0:1]
	global_store_dwordx4 v[22:23], v[6:9], off
	global_load_dwordx4 v[6:9], v[20:21], off offset:3328
	v_add_co_u32_e32 v20, vcc, s6, v2
	v_mad_u64_u32 v[18:19], s[6:7], s4, v5, v[18:19]
	v_add_u32_e32 v19, s3, v19
	v_addc_co_u32_e32 v21, vcc, 0, v3, vcc
	s_movk_i32 s3, 0x4000
	v_add_co_u32_e32 v2, vcc, s3, v2
	s_waitcnt vmcnt(0) lgkmcnt(0)
	v_mul_f64 v[10:11], v[16:17], v[8:9]
	v_mul_f64 v[8:9], v[14:15], v[8:9]
	v_fmac_f64_e32 v[10:11], v[14:15], v[6:7]
	v_fma_f64 v[8:9], v[6:7], v[16:17], -v[8:9]
	v_mul_f64 v[6:7], v[10:11], s[0:1]
	v_mul_f64 v[8:9], v[8:9], s[0:1]
	global_store_dwordx4 v[18:19], v[6:9], off
	global_load_dwordx4 v[6:9], v[20:21], off offset:512
	ds_read_b128 v[10:13], v38 offset:12800
	ds_read_b128 v[14:17], v38 offset:14080
	v_mad_u64_u32 v[18:19], s[6:7], s4, v4, v[18:19]
	v_add_u32_e32 v19, s2, v19
	v_addc_co_u32_e32 v3, vcc, 0, v3, vcc
	s_waitcnt vmcnt(0) lgkmcnt(1)
	v_mul_f64 v[22:23], v[12:13], v[8:9]
	v_mul_f64 v[8:9], v[10:11], v[8:9]
	v_fmac_f64_e32 v[22:23], v[10:11], v[6:7]
	v_fma_f64 v[8:9], v[6:7], v[12:13], -v[8:9]
	v_mul_f64 v[6:7], v[22:23], s[0:1]
	v_mul_f64 v[8:9], v[8:9], s[0:1]
	global_store_dwordx4 v[18:19], v[6:9], off
	global_load_dwordx4 v[6:9], v[20:21], off offset:1792
	v_mad_u64_u32 v[18:19], s[6:7], s4, v4, v[18:19]
	v_add_u32_e32 v19, s2, v19
	s_waitcnt vmcnt(0) lgkmcnt(0)
	v_mul_f64 v[10:11], v[16:17], v[8:9]
	v_mul_f64 v[8:9], v[14:15], v[8:9]
	v_fmac_f64_e32 v[10:11], v[14:15], v[6:7]
	v_fma_f64 v[8:9], v[6:7], v[16:17], -v[8:9]
	v_mul_f64 v[6:7], v[10:11], s[0:1]
	v_mul_f64 v[8:9], v[8:9], s[0:1]
	global_store_dwordx4 v[18:19], v[6:9], off
	global_load_dwordx4 v[6:9], v[20:21], off offset:3072
	ds_read_b128 v[10:13], v38 offset:15360
	ds_read_b128 v[14:17], v38 offset:16640
	v_mad_u64_u32 v[18:19], s[6:7], s4, v4, v[18:19]
	v_add_u32_e32 v19, s2, v19
	s_waitcnt vmcnt(0) lgkmcnt(1)
	v_mul_f64 v[20:21], v[12:13], v[8:9]
	v_mul_f64 v[8:9], v[10:11], v[8:9]
	v_fmac_f64_e32 v[20:21], v[10:11], v[6:7]
	v_fma_f64 v[8:9], v[6:7], v[12:13], -v[8:9]
	v_mul_f64 v[6:7], v[20:21], s[0:1]
	v_mul_f64 v[8:9], v[8:9], s[0:1]
	global_store_dwordx4 v[18:19], v[6:9], off
	global_load_dwordx4 v[6:9], v[2:3], off offset:256
	v_mad_u64_u32 v[18:19], s[6:7], s4, v4, v[18:19]
	v_add_u32_e32 v19, s2, v19
	s_waitcnt vmcnt(0) lgkmcnt(0)
	v_mul_f64 v[10:11], v[16:17], v[8:9]
	v_mul_f64 v[8:9], v[14:15], v[8:9]
	v_fmac_f64_e32 v[10:11], v[14:15], v[6:7]
	v_fma_f64 v[8:9], v[6:7], v[16:17], -v[8:9]
	v_mul_f64 v[6:7], v[10:11], s[0:1]
	v_mul_f64 v[8:9], v[8:9], s[0:1]
	global_store_dwordx4 v[18:19], v[6:9], off
	global_load_dwordx4 v[6:9], v[2:3], off offset:1536
	ds_read_b128 v[10:13], v38 offset:17920
	ds_read_b128 v[14:17], v38 offset:19200
	v_mad_u64_u32 v[18:19], s[6:7], s4, v4, v[18:19]
	v_add_u32_e32 v19, s2, v19
	s_waitcnt vmcnt(0) lgkmcnt(1)
	v_mul_f64 v[20:21], v[12:13], v[8:9]
	v_mul_f64 v[8:9], v[10:11], v[8:9]
	v_fmac_f64_e32 v[20:21], v[10:11], v[6:7]
	v_fma_f64 v[8:9], v[6:7], v[12:13], -v[8:9]
	v_mul_f64 v[6:7], v[20:21], s[0:1]
	v_mul_f64 v[8:9], v[8:9], s[0:1]
	global_store_dwordx4 v[18:19], v[6:9], off
	global_load_dwordx4 v[6:9], v[2:3], off offset:2816
	v_mad_u64_u32 v[10:11], s[6:7], s4, v4, v[18:19]
	v_or_b32_e32 v13, 0x500, v246
	v_add_u32_e32 v11, s2, v11
	v_lshlrev_b32_e32 v12, 4, v13
	s_waitcnt vmcnt(0) lgkmcnt(0)
	v_mul_f64 v[2:3], v[16:17], v[8:9]
	v_mul_f64 v[4:5], v[14:15], v[8:9]
	v_fmac_f64_e32 v[2:3], v[14:15], v[6:7]
	v_fma_f64 v[4:5], v[6:7], v[16:17], -v[4:5]
	v_mul_f64 v[2:3], v[2:3], s[0:1]
	v_mul_f64 v[4:5], v[4:5], s[0:1]
	global_store_dwordx4 v[10:11], v[2:5], off
	global_load_dwordx4 v[2:5], v12, s[8:9]
	ds_read_b128 v[6:9], v38 offset:20480
	v_mad_u64_u32 v[10:11], s[2:3], s4, v13, 0
	v_mov_b32_e32 v12, v11
	v_mad_u64_u32 v[12:13], s[2:3], s5, v13, v[12:13]
	v_mov_b32_e32 v11, v12
	v_lshl_add_u64 v[0:1], v[10:11], 4, v[0:1]
	s_waitcnt vmcnt(0) lgkmcnt(0)
	v_mul_f64 v[12:13], v[8:9], v[4:5]
	v_mul_f64 v[4:5], v[6:7], v[4:5]
	v_fmac_f64_e32 v[12:13], v[6:7], v[2:3]
	v_fma_f64 v[4:5], v[2:3], v[8:9], -v[4:5]
	v_mul_f64 v[2:3], v[12:13], s[0:1]
	v_mul_f64 v[4:5], v[4:5], s[0:1]
	global_store_dwordx4 v[0:1], v[2:5], off
.LBB0_23:
	s_endpgm
	.section	.rodata,"a",@progbits
	.p2align	6, 0x0
	.amdhsa_kernel bluestein_single_fwd_len1360_dim1_dp_op_CI_CI
		.amdhsa_group_segment_fixed_size 65280
		.amdhsa_private_segment_fixed_size 0
		.amdhsa_kernarg_size 104
		.amdhsa_user_sgpr_count 2
		.amdhsa_user_sgpr_dispatch_ptr 0
		.amdhsa_user_sgpr_queue_ptr 0
		.amdhsa_user_sgpr_kernarg_segment_ptr 1
		.amdhsa_user_sgpr_dispatch_id 0
		.amdhsa_user_sgpr_kernarg_preload_length 0
		.amdhsa_user_sgpr_kernarg_preload_offset 0
		.amdhsa_user_sgpr_private_segment_size 0
		.amdhsa_uses_dynamic_stack 0
		.amdhsa_enable_private_segment 0
		.amdhsa_system_sgpr_workgroup_id_x 1
		.amdhsa_system_sgpr_workgroup_id_y 0
		.amdhsa_system_sgpr_workgroup_id_z 0
		.amdhsa_system_sgpr_workgroup_info 0
		.amdhsa_system_vgpr_workitem_id 0
		.amdhsa_next_free_vgpr 423
		.amdhsa_next_free_sgpr 60
		.amdhsa_accum_offset 256
		.amdhsa_reserve_vcc 1
		.amdhsa_float_round_mode_32 0
		.amdhsa_float_round_mode_16_64 0
		.amdhsa_float_denorm_mode_32 3
		.amdhsa_float_denorm_mode_16_64 3
		.amdhsa_dx10_clamp 1
		.amdhsa_ieee_mode 1
		.amdhsa_fp16_overflow 0
		.amdhsa_tg_split 0
		.amdhsa_exception_fp_ieee_invalid_op 0
		.amdhsa_exception_fp_denorm_src 0
		.amdhsa_exception_fp_ieee_div_zero 0
		.amdhsa_exception_fp_ieee_overflow 0
		.amdhsa_exception_fp_ieee_underflow 0
		.amdhsa_exception_fp_ieee_inexact 0
		.amdhsa_exception_int_div_zero 0
	.end_amdhsa_kernel
	.text
.Lfunc_end0:
	.size	bluestein_single_fwd_len1360_dim1_dp_op_CI_CI, .Lfunc_end0-bluestein_single_fwd_len1360_dim1_dp_op_CI_CI
                                        ; -- End function
	.section	.AMDGPU.csdata,"",@progbits
; Kernel info:
; codeLenInByte = 29040
; NumSgprs: 66
; NumVgprs: 256
; NumAgprs: 167
; TotalNumVgprs: 423
; ScratchSize: 0
; MemoryBound: 0
; FloatMode: 240
; IeeeMode: 1
; LDSByteSize: 65280 bytes/workgroup (compile time only)
; SGPRBlocks: 8
; VGPRBlocks: 52
; NumSGPRsForWavesPerEU: 66
; NumVGPRsForWavesPerEU: 423
; AccumOffset: 256
; Occupancy: 1
; WaveLimiterHint : 1
; COMPUTE_PGM_RSRC2:SCRATCH_EN: 0
; COMPUTE_PGM_RSRC2:USER_SGPR: 2
; COMPUTE_PGM_RSRC2:TRAP_HANDLER: 0
; COMPUTE_PGM_RSRC2:TGID_X_EN: 1
; COMPUTE_PGM_RSRC2:TGID_Y_EN: 0
; COMPUTE_PGM_RSRC2:TGID_Z_EN: 0
; COMPUTE_PGM_RSRC2:TIDIG_COMP_CNT: 0
; COMPUTE_PGM_RSRC3_GFX90A:ACCUM_OFFSET: 63
; COMPUTE_PGM_RSRC3_GFX90A:TG_SPLIT: 0
	.text
	.p2alignl 6, 3212836864
	.fill 256, 4, 3212836864
	.type	__hip_cuid_ff52d9590fcf7192,@object ; @__hip_cuid_ff52d9590fcf7192
	.section	.bss,"aw",@nobits
	.globl	__hip_cuid_ff52d9590fcf7192
__hip_cuid_ff52d9590fcf7192:
	.byte	0                               ; 0x0
	.size	__hip_cuid_ff52d9590fcf7192, 1

	.ident	"AMD clang version 19.0.0git (https://github.com/RadeonOpenCompute/llvm-project roc-6.4.0 25133 c7fe45cf4b819c5991fe208aaa96edf142730f1d)"
	.section	".note.GNU-stack","",@progbits
	.addrsig
	.addrsig_sym __hip_cuid_ff52d9590fcf7192
	.amdgpu_metadata
---
amdhsa.kernels:
  - .agpr_count:     167
    .args:
      - .actual_access:  read_only
        .address_space:  global
        .offset:         0
        .size:           8
        .value_kind:     global_buffer
      - .actual_access:  read_only
        .address_space:  global
        .offset:         8
        .size:           8
        .value_kind:     global_buffer
      - .actual_access:  read_only
        .address_space:  global
        .offset:         16
        .size:           8
        .value_kind:     global_buffer
      - .actual_access:  read_only
        .address_space:  global
        .offset:         24
        .size:           8
        .value_kind:     global_buffer
      - .actual_access:  read_only
        .address_space:  global
        .offset:         32
        .size:           8
        .value_kind:     global_buffer
      - .offset:         40
        .size:           8
        .value_kind:     by_value
      - .address_space:  global
        .offset:         48
        .size:           8
        .value_kind:     global_buffer
      - .address_space:  global
        .offset:         56
        .size:           8
        .value_kind:     global_buffer
      - .address_space:  global
        .offset:         64
        .size:           8
        .value_kind:     global_buffer
      - .address_space:  global
        .offset:         72
        .size:           8
        .value_kind:     global_buffer
      - .offset:         80
        .size:           4
        .value_kind:     by_value
      - .address_space:  global
        .offset:         88
        .size:           8
        .value_kind:     global_buffer
      - .address_space:  global
        .offset:         96
        .size:           8
        .value_kind:     global_buffer
    .group_segment_fixed_size: 65280
    .kernarg_segment_align: 8
    .kernarg_segment_size: 104
    .language:       OpenCL C
    .language_version:
      - 2
      - 0
    .max_flat_workgroup_size: 255
    .name:           bluestein_single_fwd_len1360_dim1_dp_op_CI_CI
    .private_segment_fixed_size: 0
    .sgpr_count:     66
    .sgpr_spill_count: 0
    .symbol:         bluestein_single_fwd_len1360_dim1_dp_op_CI_CI.kd
    .uniform_work_group_size: 1
    .uses_dynamic_stack: false
    .vgpr_count:     423
    .vgpr_spill_count: 2
    .wavefront_size: 64
amdhsa.target:   amdgcn-amd-amdhsa--gfx950
amdhsa.version:
  - 1
  - 2
...

	.end_amdgpu_metadata
